;; amdgpu-corpus repo=ROCm/rocFFT kind=compiled arch=gfx1201 opt=O3
	.text
	.amdgcn_target "amdgcn-amd-amdhsa--gfx1201"
	.amdhsa_code_object_version 6
	.protected	bluestein_single_back_len1215_dim1_half_op_CI_CI ; -- Begin function bluestein_single_back_len1215_dim1_half_op_CI_CI
	.globl	bluestein_single_back_len1215_dim1_half_op_CI_CI
	.p2align	8
	.type	bluestein_single_back_len1215_dim1_half_op_CI_CI,@function
bluestein_single_back_len1215_dim1_half_op_CI_CI: ; @bluestein_single_back_len1215_dim1_half_op_CI_CI
; %bb.0:
	s_load_b128 s[16:19], s[0:1], 0x28
	v_mul_u32_u24_e32 v1, 0x10e, v0
	s_mov_b32 s2, exec_lo
	v_mov_b32_e32 v2, 0
	s_delay_alu instid0(VALU_DEP_2) | instskip(NEXT) | instid1(VALU_DEP_1)
	v_lshrrev_b32_e32 v3, 16, v1
	v_add_nc_u32_e32 v1, ttmp9, v3
	s_wait_kmcnt 0x0
	s_delay_alu instid0(VALU_DEP_1)
	v_cmpx_gt_u64_e64 s[16:17], v[1:2]
	s_cbranch_execz .LBB0_42
; %bb.1:
	s_clause 0x1
	s_load_b128 s[4:7], s[0:1], 0x18
	s_load_b128 s[8:11], s[0:1], 0x0
	v_mul_lo_u16 v2, 0xf3, v3
	s_delay_alu instid0(VALU_DEP_1) | instskip(NEXT) | instid1(VALU_DEP_1)
	v_sub_nc_u16 v9, v0, v2
	v_and_b32_e32 v28, 0xffff, v9
	s_wait_kmcnt 0x0
	s_load_b128 s[12:15], s[4:5], 0x0
	s_wait_kmcnt 0x0
	v_mad_co_u64_u32 v[2:3], null, s14, v1, 0
	v_mad_co_u64_u32 v[4:5], null, s12, v28, 0
	s_mul_u64 s[2:3], s[12:13], 0x3cc
	s_delay_alu instid0(VALU_DEP_1) | instskip(SKIP_1) | instid1(VALU_DEP_2)
	v_dual_mov_b32 v0, v3 :: v_dual_mov_b32 v3, v5
	v_lshlrev_b32_e32 v24, 2, v28
	v_mad_co_u64_u32 v[5:6], null, s15, v1, v[0:1]
	s_delay_alu instid0(VALU_DEP_3)
	v_mad_co_u64_u32 v[6:7], null, s13, v28, v[3:4]
	s_clause 0x4
	global_load_b32 v30, v24, s[8:9]
	global_load_b32 v31, v24, s[8:9] offset:972
	global_load_b32 v29, v24, s[8:9] offset:1944
	;; [unrolled: 1-line block ×4, first 2 shown]
	v_mov_b32_e32 v3, v5
	v_mov_b32_e32 v5, v6
	s_delay_alu instid0(VALU_DEP_2) | instskip(NEXT) | instid1(VALU_DEP_2)
	v_lshlrev_b64_e32 v[2:3], 2, v[2:3]
	v_lshlrev_b64_e32 v[4:5], 2, v[4:5]
	s_delay_alu instid0(VALU_DEP_2) | instskip(NEXT) | instid1(VALU_DEP_3)
	v_add_co_u32 v2, vcc_lo, s18, v2
	v_add_co_ci_u32_e32 v3, vcc_lo, s19, v3, vcc_lo
	s_delay_alu instid0(VALU_DEP_2) | instskip(SKIP_1) | instid1(VALU_DEP_2)
	v_add_co_u32 v2, vcc_lo, v2, v4
	s_wait_alu 0xfffd
	v_add_co_ci_u32_e32 v3, vcc_lo, v3, v5, vcc_lo
	s_delay_alu instid0(VALU_DEP_2) | instskip(SKIP_1) | instid1(VALU_DEP_2)
	v_add_co_u32 v4, vcc_lo, v2, s2
	s_wait_alu 0xfffd
	v_add_co_ci_u32_e32 v5, vcc_lo, s3, v3, vcc_lo
	s_clause 0x1
	global_load_b32 v6, v[2:3], off
	global_load_b32 v7, v[4:5], off
	v_add_co_u32 v2, vcc_lo, v4, s2
	s_wait_alu 0xfffd
	v_add_co_ci_u32_e32 v3, vcc_lo, s3, v5, vcc_lo
	s_delay_alu instid0(VALU_DEP_2) | instskip(SKIP_1) | instid1(VALU_DEP_2)
	v_add_co_u32 v4, vcc_lo, v2, s2
	s_wait_alu 0xfffd
	v_add_co_ci_u32_e32 v5, vcc_lo, s3, v3, vcc_lo
	global_load_b32 v8, v[2:3], off
	v_add_co_u32 v2, vcc_lo, v4, s2
	s_wait_alu 0xfffd
	v_add_co_ci_u32_e32 v3, vcc_lo, s3, v5, vcc_lo
	s_load_b64 s[2:3], s[0:1], 0x38
	s_clause 0x1
	global_load_b32 v4, v[4:5], off
	global_load_b32 v2, v[2:3], off
	v_add_nc_u32_e32 v5, 0x780, v24
	s_load_b128 s[4:7], s[6:7], 0x0
	v_cmp_gt_u16_e32 vcc_lo, 0xa2, v9
	s_wait_loadcnt 0x9
	v_lshrrev_b32_e32 v34, 16, v30
	s_wait_loadcnt 0x8
	v_lshrrev_b32_e32 v33, 16, v31
	;; [unrolled: 2-line block ×6, first 2 shown]
	v_mul_f16_e32 v10, v34, v6
	s_wait_loadcnt 0x3
	v_lshrrev_b32_e32 v11, 16, v7
	v_mul_f16_e32 v13, v33, v7
	v_mul_f16_e32 v12, v34, v3
	v_fma_f16 v3, v30, v3, -v10
	s_delay_alu instid0(VALU_DEP_4) | instskip(NEXT) | instid1(VALU_DEP_4)
	v_mul_f16_e32 v10, v33, v11
	v_fma_f16 v11, v31, v11, -v13
	s_delay_alu instid0(VALU_DEP_4) | instskip(SKIP_4) | instid1(VALU_DEP_3)
	v_fmac_f16_e32 v12, v30, v6
	s_wait_loadcnt 0x2
	v_lshrrev_b32_e32 v6, 16, v8
	v_mul_f16_e32 v13, v32, v8
	v_fmac_f16_e32 v10, v31, v7
	v_mul_f16_e32 v14, v32, v6
	s_wait_loadcnt 0x1
	v_lshrrev_b32_e32 v7, 16, v4
	s_wait_loadcnt 0x0
	v_lshrrev_b32_e32 v15, 16, v2
	v_fma_f16 v6, v29, v6, -v13
	v_mul_f16_e32 v13, v27, v4
	v_mul_f16_e32 v17, v25, v2
	;; [unrolled: 1-line block ×4, first 2 shown]
	v_fmac_f16_e32 v14, v29, v8
	v_fma_f16 v7, v26, v7, -v13
	s_delay_alu instid0(VALU_DEP_4)
	v_fmac_f16_e32 v16, v26, v4
	v_fma_f16 v4, v0, v15, -v17
	v_fmac_f16_e32 v18, v0, v2
	v_pack_b32_f16 v2, v12, v3
	v_pack_b32_f16 v3, v10, v11
	;; [unrolled: 1-line block ×5, first 2 shown]
	ds_store_2addr_b32 v24, v2, v3 offset1:243
	ds_store_2addr_b32 v5, v6, v7 offset0:6 offset1:249
	ds_store_b32 v24, v4 offset:3888
	global_wb scope:SCOPE_SE
	s_wait_dscnt 0x0
	s_wait_kmcnt 0x0
	s_barrier_signal -1
	s_barrier_wait -1
	global_inv scope:SCOPE_SE
	ds_load_2addr_b32 v[2:3], v24 offset1:243
	ds_load_2addr_b32 v[4:5], v5 offset0:6 offset1:249
	ds_load_b32 v6, v24 offset:3888
	v_mul_lo_u16 v7, v9, 5
	global_wb scope:SCOPE_SE
	s_wait_dscnt 0x0
	s_barrier_signal -1
	s_barrier_wait -1
	global_inv scope:SCOPE_SE
	v_and_b32_e32 v7, 0xffff, v7
	s_delay_alu instid0(VALU_DEP_1)
	v_lshlrev_b32_e32 v37, 2, v7
	v_pk_add_f16 v7, v2, v3
	v_pk_add_f16 v8, v4, v5
	v_pk_add_f16 v10, v3, v6 neg_lo:[0,1] neg_hi:[0,1]
	v_pk_add_f16 v11, v4, v5 neg_lo:[0,1] neg_hi:[0,1]
	v_pk_add_f16 v14, v3, v6
	v_pk_add_f16 v12, v3, v4 neg_lo:[0,1] neg_hi:[0,1]
	v_pk_fma_f16 v8, v8, 0.5, v2 op_sel_hi:[1,0,1] neg_lo:[1,0,0] neg_hi:[1,0,0]
	v_pk_mul_f16 v16, 0x3b9c, v10 op_sel_hi:[0,1]
	v_pk_mul_f16 v10, 0x38b4, v10 op_sel_hi:[0,1]
	v_pk_fma_f16 v2, v14, 0.5, v2 op_sel_hi:[1,0,1] neg_lo:[1,0,0] neg_hi:[1,0,0]
	v_pk_mul_f16 v14, 0x3b9c, v11 op_sel_hi:[0,1]
	v_pk_mul_f16 v11, 0x38b4, v11 op_sel_hi:[0,1]
	v_pk_add_f16 v17, v8, v16 op_sel:[0,1] op_sel_hi:[1,0]
	v_pk_add_f16 v8, v8, v16 op_sel:[0,1] op_sel_hi:[1,0] neg_lo:[0,1] neg_hi:[0,1]
	v_pk_add_f16 v13, v6, v5 neg_lo:[0,1] neg_hi:[0,1]
	v_pk_add_f16 v16, v2, v14 op_sel:[0,1] op_sel_hi:[1,0] neg_lo:[0,1] neg_hi:[0,1]
	v_pk_add_f16 v2, v2, v14 op_sel:[0,1] op_sel_hi:[1,0]
	v_pk_add_f16 v3, v4, v3 neg_lo:[0,1] neg_hi:[0,1]
	v_pk_add_f16 v4, v7, v4
	v_pk_add_f16 v7, v17, v11 op_sel:[0,1] op_sel_hi:[1,0]
	v_pk_add_f16 v8, v8, v11 op_sel:[0,1] op_sel_hi:[1,0] neg_lo:[0,1] neg_hi:[0,1]
	v_pk_add_f16 v15, v5, v6 neg_lo:[0,1] neg_hi:[0,1]
	v_pk_add_f16 v11, v16, v10 op_sel:[0,1] op_sel_hi:[1,0]
	v_pk_add_f16 v2, v2, v10 op_sel:[0,1] op_sel_hi:[1,0] neg_lo:[0,1] neg_hi:[0,1]
	v_pk_add_f16 v10, v12, v13
	v_pk_add_f16 v4, v4, v5
	v_bfi_b32 v5, 0xffff, v7, v8
	v_pk_add_f16 v3, v3, v15
	v_bfi_b32 v12, 0xffff, v11, v2
	v_bfi_b32 v2, 0xffff, v2, v11
	v_bfi_b32 v7, 0xffff, v8, v7
	v_pk_add_f16 v4, v4, v6
	v_pk_fma_f16 v5, 0x34f2, v10, v5 op_sel_hi:[0,1,1]
	v_pk_fma_f16 v6, 0x34f2, v3, v12 op_sel_hi:[0,1,1]
	;; [unrolled: 1-line block ×4, first 2 shown]
	ds_store_2addr_b32 v37, v4, v5 offset1:1
	ds_store_2addr_b32 v37, v6, v11 offset0:2 offset1:3
	ds_store_b32 v37, v7 offset:16
	global_wb scope:SCOPE_SE
	s_wait_dscnt 0x0
	s_barrier_signal -1
	s_barrier_wait -1
	global_inv scope:SCOPE_SE
	ds_load_b32 v6, v24
	ds_load_b32 v13, v24 offset:1620
	ds_load_b32 v8, v24 offset:3240
	v_lshrrev_b32_e32 v12, 16, v11
	v_lshrrev_b32_e32 v9, 16, v7
                                        ; implicit-def: $vgpr15
                                        ; implicit-def: $vgpr16
	s_and_saveexec_b32 s0, vcc_lo
	s_cbranch_execz .LBB0_3
; %bb.2:
	ds_load_b32 v11, v24 offset:972
	ds_load_b32 v7, v24 offset:2592
	;; [unrolled: 1-line block ×3, first 2 shown]
	s_wait_dscnt 0x2
	v_lshrrev_b32_e32 v12, 16, v11
	s_wait_dscnt 0x1
	v_lshrrev_b32_e32 v9, 16, v7
	;; [unrolled: 2-line block ×3, first 2 shown]
.LBB0_3:
	s_wait_alu 0xfffe
	s_or_b32 exec_lo, exec_lo, s0
	v_and_b32_e32 v10, 0xff, v28
	v_add_co_u32 v18, s0, 0xf3, v28
	s_wait_dscnt 0x1
	v_lshrrev_b32_e32 v21, 16, v13
	s_wait_dscnt 0x0
	v_lshrrev_b32_e32 v23, 16, v8
	v_mul_lo_u16 v2, 0xcd, v10
	v_and_b32_e32 v14, 0xffff, v18
	v_lshrrev_b32_e32 v22, 16, v6
	s_wait_alu 0xf1ff
	v_add_co_ci_u32_e64 v19, null, 0, 0, s0
	v_lshrrev_b16 v17, 10, v2
	v_mul_u32_u24_e32 v2, 0xcccd, v14
	s_delay_alu instid0(VALU_DEP_2) | instskip(NEXT) | instid1(VALU_DEP_2)
	v_mul_lo_u16 v3, v17, 5
	v_lshrrev_b32_e32 v35, 18, v2
	v_and_b32_e32 v17, 0xffff, v17
	s_delay_alu instid0(VALU_DEP_3) | instskip(NEXT) | instid1(VALU_DEP_3)
	v_sub_nc_u16 v2, v28, v3
	v_mul_lo_u16 v3, v35, 5
	s_delay_alu instid0(VALU_DEP_3) | instskip(NEXT) | instid1(VALU_DEP_3)
	v_mul_u32_u24_e32 v17, 15, v17
	v_and_b32_e32 v20, 0xff, v2
	s_delay_alu instid0(VALU_DEP_3) | instskip(NEXT) | instid1(VALU_DEP_2)
	v_sub_nc_u16 v36, v18, v3
	v_lshlrev_b32_e32 v2, 3, v20
	s_delay_alu instid0(VALU_DEP_2) | instskip(SKIP_3) | instid1(VALU_DEP_1)
	v_lshlrev_b16 v3, 1, v36
	v_add_lshl_u32 v38, v17, v20, 2
	global_load_b64 v[4:5], v2, s[10:11]
	v_and_b32_e32 v2, 0xffff, v3
	v_lshlrev_b32_e32 v2, 2, v2
	global_load_b64 v[2:3], v2, s[10:11]
	global_wb scope:SCOPE_SE
	s_wait_loadcnt 0x0
	s_barrier_signal -1
	s_barrier_wait -1
	global_inv scope:SCOPE_SE
	v_lshrrev_b32_e32 v44, 16, v4
	v_lshrrev_b32_e32 v42, 16, v5
	s_delay_alu instid0(VALU_DEP_2) | instskip(SKIP_1) | instid1(VALU_DEP_3)
	v_mul_f16_e32 v17, v21, v44
	v_mul_f16_e32 v20, v13, v44
	;; [unrolled: 1-line block ×4, first 2 shown]
	s_delay_alu instid0(VALU_DEP_4)
	v_fma_f16 v13, v13, v4, -v17
	v_lshrrev_b32_e32 v43, 16, v2
	v_lshrrev_b32_e32 v41, 16, v3
	v_fmac_f16_e32 v20, v21, v4
	v_fma_f16 v8, v8, v5, -v39
	v_fmac_f16_e32 v40, v23, v5
	v_mul_f16_e32 v17, v9, v43
	v_mul_f16_e32 v21, v7, v43
	;; [unrolled: 1-line block ×4, first 2 shown]
	v_add_f16_e32 v46, v13, v8
	v_sub_f16_e32 v47, v20, v40
	v_add_f16_e32 v48, v22, v20
	v_add_f16_e32 v20, v20, v40
	v_fma_f16 v7, v7, v2, -v17
	v_fmac_f16_e32 v21, v9, v2
	v_fma_f16 v9, v15, v3, -v23
	v_fmac_f16_e32 v39, v16, v3
	v_add_f16_e32 v45, v6, v13
	v_sub_f16_e32 v13, v13, v8
	v_fmac_f16_e32 v6, -0.5, v46
	v_fmac_f16_e32 v22, -0.5, v20
	v_add_f16_e32 v15, v48, v40
	v_add_f16_e32 v16, v7, v9
	v_sub_f16_e32 v23, v21, v39
	v_add_f16_e32 v40, v12, v21
	v_add_f16_e32 v21, v21, v39
	v_add_f16_e32 v8, v45, v8
	v_fmamk_f16 v17, v47, 0x3aee, v6
	v_fmamk_f16 v20, v13, 0xbaee, v22
	v_fmac_f16_e32 v22, 0x3aee, v13
	v_add_f16_e32 v13, v11, v7
	v_sub_f16_e32 v7, v7, v9
	v_fmac_f16_e32 v11, -0.5, v16
	v_fmac_f16_e32 v12, -0.5, v21
	v_fmac_f16_e32 v6, 0xbaee, v47
	v_pack_b32_f16 v8, v8, v15
	v_add_f16_e32 v15, v13, v9
	v_add_f16_e32 v16, v40, v39
	v_pack_b32_f16 v9, v17, v20
	v_fmamk_f16 v17, v23, 0x3aee, v11
	v_fmac_f16_e32 v11, 0xbaee, v23
	v_fmamk_f16 v20, v7, 0xbaee, v12
	v_fmac_f16_e32 v12, 0x3aee, v7
	v_pack_b32_f16 v6, v6, v22
	ds_store_2addr_b32 v38, v8, v9 offset1:5
	ds_store_b32 v38, v6 offset:40
	s_and_saveexec_b32 s0, vcc_lo
	s_cbranch_execz .LBB0_5
; %bb.4:
	v_mad_u16 v6, v35, 15, v36
	v_perm_b32 v7, v16, v15, 0x5040100
	v_perm_b32 v8, v20, v17, 0x5040100
	;; [unrolled: 1-line block ×3, first 2 shown]
	s_delay_alu instid0(VALU_DEP_4) | instskip(NEXT) | instid1(VALU_DEP_1)
	v_and_b32_e32 v6, 0xffff, v6
	v_lshlrev_b32_e32 v6, 2, v6
	ds_store_2addr_b32 v6, v7, v8 offset1:5
	ds_store_b32 v6, v9 offset:40
.LBB0_5:
	s_wait_alu 0xfffe
	s_or_b32 exec_lo, exec_lo, s0
	global_wb scope:SCOPE_SE
	s_wait_dscnt 0x0
	s_barrier_signal -1
	s_barrier_wait -1
	global_inv scope:SCOPE_SE
	ds_load_b32 v13, v24
	ds_load_b32 v22, v24 offset:1620
	ds_load_b32 v21, v24 offset:3240
	s_and_saveexec_b32 s0, vcc_lo
	s_cbranch_execz .LBB0_7
; %bb.6:
	ds_load_b32 v15, v24 offset:972
	ds_load_b32 v17, v24 offset:2592
	;; [unrolled: 1-line block ×3, first 2 shown]
	s_wait_dscnt 0x2
	v_lshrrev_b32_e32 v16, 16, v15
	s_wait_dscnt 0x1
	v_lshrrev_b32_e32 v20, 16, v17
	;; [unrolled: 2-line block ×3, first 2 shown]
.LBB0_7:
	s_wait_alu 0xfffe
	s_or_b32 exec_lo, exec_lo, s0
	v_mul_lo_u16 v6, 0x89, v10
	v_mul_u32_u24_e32 v7, 0x8889, v14
	s_wait_dscnt 0x1
	v_lshrrev_b32_e32 v51, 16, v22
	s_wait_dscnt 0x0
	v_lshrrev_b32_e32 v52, 16, v21
	v_lshrrev_b32_e32 v46, 16, v13
	v_lshrrev_b16 v23, 11, v6
	v_lshrrev_b32_e32 v39, 19, v7
	s_delay_alu instid0(VALU_DEP_2) | instskip(NEXT) | instid1(VALU_DEP_2)
	v_mul_lo_u16 v6, v23, 15
	v_mul_lo_u16 v7, v39, 15
	v_and_b32_e32 v23, 0xffff, v23
	s_delay_alu instid0(VALU_DEP_3) | instskip(NEXT) | instid1(VALU_DEP_3)
	v_sub_nc_u16 v6, v28, v6
	v_sub_nc_u16 v40, v18, v7
	s_delay_alu instid0(VALU_DEP_3) | instskip(NEXT) | instid1(VALU_DEP_3)
	v_mul_u32_u24_e32 v23, 45, v23
	v_and_b32_e32 v45, 0xff, v6
	s_delay_alu instid0(VALU_DEP_3) | instskip(SKIP_1) | instid1(VALU_DEP_3)
	v_lshlrev_b16 v6, 3, v40
	v_mad_u16 v39, v39, 45, v40
	v_lshlrev_b32_e32 v7, 3, v45
	s_delay_alu instid0(VALU_DEP_3)
	v_and_b32_e32 v6, 0xffff, v6
	v_add_lshl_u32 v40, v23, v45, 2
	global_load_b64 v[8:9], v7, s[10:11] offset:40
	v_add_co_u32 v6, s0, s10, v6
	s_wait_alu 0xf1ff
	v_add_co_ci_u32_e64 v7, null, s11, 0, s0
	global_load_b64 v[6:7], v[6:7], off offset:40
	global_wb scope:SCOPE_SE
	s_wait_loadcnt 0x0
	s_barrier_signal -1
	s_barrier_wait -1
	global_inv scope:SCOPE_SE
	v_lshrrev_b32_e32 v50, 16, v8
	v_lshrrev_b32_e32 v49, 16, v9
	s_delay_alu instid0(VALU_DEP_2) | instskip(SKIP_1) | instid1(VALU_DEP_3)
	v_mul_f16_e32 v23, v51, v50
	v_mul_f16_e32 v45, v22, v50
	;; [unrolled: 1-line block ×4, first 2 shown]
	v_lshrrev_b32_e32 v48, 16, v6
	v_lshrrev_b32_e32 v47, 16, v7
	v_fma_f16 v22, v22, v8, -v23
	v_fmac_f16_e32 v45, v51, v8
	v_fma_f16 v21, v21, v9, -v53
	v_mul_f16_e32 v23, v20, v48
	v_mul_f16_e32 v51, v17, v48
	;; [unrolled: 1-line block ×4, first 2 shown]
	v_fmac_f16_e32 v54, v52, v9
	v_fma_f16 v17, v17, v6, -v23
	v_fmac_f16_e32 v51, v20, v6
	v_fma_f16 v11, v11, v7, -v53
	v_fmac_f16_e32 v55, v12, v7
	v_add_f16_e32 v12, v13, v22
	v_add_f16_e32 v20, v22, v21
	v_sub_f16_e32 v23, v45, v54
	v_add_f16_e32 v52, v46, v45
	v_add_f16_e32 v45, v45, v54
	v_sub_f16_e32 v22, v22, v21
	v_add_f16_e32 v12, v12, v21
	v_fmac_f16_e32 v13, -0.5, v20
	v_add_f16_e32 v21, v17, v11
	v_fmac_f16_e32 v46, -0.5, v45
	v_sub_f16_e32 v45, v51, v55
	v_add_f16_e32 v53, v16, v51
	v_add_f16_e32 v51, v51, v55
	v_add_f16_e32 v52, v52, v54
	v_add_f16_e32 v20, v15, v17
	v_sub_f16_e32 v17, v17, v11
	v_fmamk_f16 v54, v23, 0x3aee, v13
	v_fmamk_f16 v56, v22, 0xbaee, v46
	v_fmac_f16_e32 v15, -0.5, v21
	v_fmac_f16_e32 v16, -0.5, v51
	v_fmac_f16_e32 v13, 0xbaee, v23
	v_fmac_f16_e32 v46, 0x3aee, v22
	v_add_f16_e32 v20, v20, v11
	v_add_f16_e32 v21, v53, v55
	v_pack_b32_f16 v11, v12, v52
	v_fmamk_f16 v22, v45, 0x3aee, v15
	v_fmac_f16_e32 v15, 0xbaee, v45
	v_fmamk_f16 v23, v17, 0xbaee, v16
	v_pack_b32_f16 v12, v54, v56
	v_fmac_f16_e32 v16, 0x3aee, v17
	v_pack_b32_f16 v13, v13, v46
	ds_store_2addr_b32 v40, v11, v12 offset1:15
	ds_store_b32 v40, v13 offset:120
	s_and_saveexec_b32 s0, vcc_lo
	s_cbranch_execz .LBB0_9
; %bb.8:
	v_and_b32_e32 v11, 0xffff, v39
	v_perm_b32 v12, v21, v20, 0x5040100
	v_perm_b32 v13, v23, v22, 0x5040100
	;; [unrolled: 1-line block ×3, first 2 shown]
	s_delay_alu instid0(VALU_DEP_4)
	v_lshlrev_b32_e32 v11, 2, v11
	ds_store_2addr_b32 v11, v12, v13 offset1:15
	ds_store_b32 v11, v17 offset:120
.LBB0_9:
	s_wait_alu 0xfffe
	s_or_b32 exec_lo, exec_lo, s0
	global_wb scope:SCOPE_SE
	s_wait_dscnt 0x0
	s_barrier_signal -1
	s_barrier_wait -1
	global_inv scope:SCOPE_SE
	ds_load_b32 v17, v24
	ds_load_b32 v56, v24 offset:1620
	ds_load_b32 v51, v24 offset:3240
	s_and_saveexec_b32 s0, vcc_lo
	s_cbranch_execz .LBB0_11
; %bb.10:
	ds_load_b32 v20, v24 offset:972
	ds_load_b32 v22, v24 offset:2592
	;; [unrolled: 1-line block ×3, first 2 shown]
	s_wait_dscnt 0x2
	v_lshrrev_b32_e32 v21, 16, v20
	s_wait_dscnt 0x1
	v_lshrrev_b32_e32 v23, 16, v22
	;; [unrolled: 2-line block ×3, first 2 shown]
.LBB0_11:
	s_wait_alu 0xfffe
	s_or_b32 exec_lo, exec_lo, s0
	v_mul_lo_u16 v10, 0x6d, v10
	v_mul_u32_u24_e32 v12, 0x2d83, v14
	s_wait_dscnt 0x1
	v_lshrrev_b32_e32 v58, 16, v56
	s_wait_dscnt 0x0
	v_lshrrev_b32_e32 v59, 16, v51
	v_lshrrev_b32_e32 v57, 16, v17
	v_lshrrev_b16 v10, 8, v10
	v_lshrrev_b32_e32 v45, 19, v12
	s_delay_alu instid0(VALU_DEP_2) | instskip(NEXT) | instid1(VALU_DEP_1)
	v_sub_nc_u16 v11, v28, v10
	v_lshrrev_b16 v11, 1, v11
	s_delay_alu instid0(VALU_DEP_1) | instskip(NEXT) | instid1(VALU_DEP_1)
	v_and_b32_e32 v11, 0x7f, v11
	v_add_nc_u16 v10, v11, v10
	s_delay_alu instid0(VALU_DEP_1) | instskip(SKIP_1) | instid1(VALU_DEP_2)
	v_lshrrev_b16 v46, 5, v10
	v_mul_lo_u16 v10, v45, 45
	v_mul_lo_u16 v11, v46, 45
	s_delay_alu instid0(VALU_DEP_2) | instskip(SKIP_1) | instid1(VALU_DEP_3)
	v_sub_nc_u16 v52, v18, v10
	v_and_b32_e32 v46, 0xffff, v46
	v_sub_nc_u16 v10, v28, v11
	s_delay_alu instid0(VALU_DEP_3) | instskip(NEXT) | instid1(VALU_DEP_3)
	v_lshlrev_b16 v11, 3, v52
	v_mul_u32_u24_e32 v46, 0x87, v46
	v_mad_u16 v45, 0x87, v45, v52
	s_delay_alu instid0(VALU_DEP_4) | instskip(NEXT) | instid1(VALU_DEP_4)
	v_and_b32_e32 v53, 0xff, v10
	v_and_b32_e32 v10, 0xffff, v11
	s_delay_alu instid0(VALU_DEP_2) | instskip(NEXT) | instid1(VALU_DEP_2)
	v_lshlrev_b32_e32 v12, 3, v53
	v_add_co_u32 v10, s0, s10, v10
	s_wait_alu 0xf1ff
	v_add_co_ci_u32_e64 v11, null, s11, 0, s0
	v_add_lshl_u32 v46, v46, v53, 2
	s_clause 0x1
	global_load_b64 v[12:13], v12, s[10:11] offset:160
	global_load_b64 v[10:11], v[10:11], off offset:160
	global_wb scope:SCOPE_SE
	s_wait_loadcnt 0x0
	s_barrier_signal -1
	s_barrier_wait -1
	global_inv scope:SCOPE_SE
	v_lshrrev_b32_e32 v55, 16, v12
	v_lshrrev_b32_e32 v54, 16, v13
	;; [unrolled: 1-line block ×4, first 2 shown]
	s_delay_alu instid0(VALU_DEP_4)
	v_mul_f16_e32 v60, v58, v55
	v_mul_f16_e32 v61, v56, v55
	;; [unrolled: 1-line block ×8, first 2 shown]
	v_fma_f16 v56, v56, v12, -v60
	v_fmac_f16_e32 v61, v58, v12
	v_fma_f16 v51, v51, v13, -v62
	v_fmac_f16_e32 v63, v59, v13
	;; [unrolled: 2-line block ×4, first 2 shown]
	v_add_f16_e32 v23, v56, v51
	v_add_f16_e32 v60, v61, v63
	;; [unrolled: 1-line block ×3, first 2 shown]
	v_sub_f16_e32 v58, v61, v63
	v_add_f16_e32 v59, v57, v61
	v_sub_f16_e32 v56, v56, v51
	v_add_f16_e32 v61, v20, v22
	v_add_f16_e32 v62, v22, v15
	;; [unrolled: 1-line block ×3, first 2 shown]
	v_fmac_f16_e32 v17, -0.5, v23
	v_fmac_f16_e32 v57, -0.5, v60
	v_sub_f16_e32 v64, v65, v67
	v_add_f16_e32 v66, v21, v65
	v_sub_f16_e32 v69, v22, v15
	v_add_f16_e32 v16, v16, v51
	v_add_f16_e32 v51, v59, v63
	;; [unrolled: 1-line block ×3, first 2 shown]
	v_fmac_f16_e32 v20, -0.5, v62
	v_fmac_f16_e32 v21, -0.5, v68
	v_fmamk_f16 v15, v58, 0x3aee, v17
	v_fmac_f16_e32 v17, 0xbaee, v58
	v_fmamk_f16 v58, v56, 0xbaee, v57
	v_fmac_f16_e32 v57, 0x3aee, v56
	v_add_f16_e32 v66, v66, v67
	v_fmamk_f16 v22, v64, 0x3aee, v20
	v_fmac_f16_e32 v20, 0xbaee, v64
	v_fmamk_f16 v23, v69, 0xbaee, v21
	v_pack_b32_f16 v16, v16, v51
	v_pack_b32_f16 v15, v15, v58
	v_fmac_f16_e32 v21, 0x3aee, v69
	v_pack_b32_f16 v17, v17, v57
	ds_store_2addr_b32 v46, v16, v15 offset1:45
	ds_store_b32 v46, v17 offset:360
	s_and_saveexec_b32 s0, vcc_lo
	s_cbranch_execz .LBB0_13
; %bb.12:
	v_and_b32_e32 v15, 0xffff, v45
	v_perm_b32 v16, v66, v65, 0x5040100
	v_perm_b32 v17, v23, v22, 0x5040100
	;; [unrolled: 1-line block ×3, first 2 shown]
	s_delay_alu instid0(VALU_DEP_4)
	v_lshlrev_b32_e32 v15, 2, v15
	ds_store_2addr_b32 v15, v16, v17 offset1:45
	ds_store_b32 v15, v51 offset:360
.LBB0_13:
	s_wait_alu 0xfffe
	s_or_b32 exec_lo, exec_lo, s0
	global_wb scope:SCOPE_SE
	s_wait_dscnt 0x0
	s_barrier_signal -1
	s_barrier_wait -1
	global_inv scope:SCOPE_SE
	ds_load_b32 v56, v24
	ds_load_b32 v58, v24 offset:1620
	ds_load_b32 v57, v24 offset:3240
	s_and_saveexec_b32 s0, vcc_lo
	s_cbranch_execz .LBB0_15
; %bb.14:
	ds_load_b32 v65, v24 offset:972
	ds_load_b32 v22, v24 offset:2592
	;; [unrolled: 1-line block ×3, first 2 shown]
	s_wait_dscnt 0x2
	v_lshrrev_b32_e32 v66, 16, v65
	s_wait_dscnt 0x1
	v_lshrrev_b32_e32 v23, 16, v22
	;; [unrolled: 2-line block ×3, first 2 shown]
.LBB0_15:
	s_wait_alu 0xfffe
	s_or_b32 exec_lo, exec_lo, s0
	v_add_co_u32 v15, s0, 0xffffff79, v28
	v_mul_u32_u24_e32 v14, 0x795d, v14
	s_wait_alu 0xf1ff
	v_add_co_ci_u32_e64 v16, null, 0, -1, s0
	v_cmp_gt_u16_e64 s0, 0x87, v28
	s_wait_dscnt 0x1
	v_lshrrev_b32_e32 v64, 16, v58
	v_lshrrev_b32_e32 v61, 22, v14
	s_wait_dscnt 0x0
	v_lshrrev_b32_e32 v68, 16, v57
	v_lshrrev_b32_e32 v67, 16, v56
	s_wait_alu 0xf1ff
	v_cndmask_b32_e64 v60, v16, 0, s0
	v_cndmask_b32_e64 v59, v15, v28, s0
	v_mul_lo_u16 v16, 0x87, v61
	s_delay_alu instid0(VALU_DEP_2) | instskip(NEXT) | instid1(VALU_DEP_2)
	v_lshlrev_b64_e32 v[14:15], 3, v[59:60]
	v_sub_nc_u16 v60, v18, v16
	s_delay_alu instid0(VALU_DEP_2) | instskip(SKIP_1) | instid1(VALU_DEP_3)
	v_add_co_u32 v14, s0, s10, v14
	s_wait_alu 0xf1ff
	v_add_co_ci_u32_e64 v15, s0, s11, v15, s0
	s_delay_alu instid0(VALU_DEP_3) | instskip(SKIP_2) | instid1(VALU_DEP_1)
	v_lshlrev_b16 v51, 3, v60
	global_load_b64 v[16:17], v[14:15], off offset:520
	v_and_b32_e32 v14, 0xffff, v51
	v_add_co_u32 v14, s0, s10, v14
	s_wait_alu 0xf1ff
	v_add_co_ci_u32_e64 v15, null, s11, 0, s0
	v_cmp_lt_u16_e64 s0, 0x86, v28
	global_load_b64 v[14:15], v[14:15], off offset:520
	global_wb scope:SCOPE_SE
	s_wait_loadcnt 0x0
	s_wait_alu 0xf1ff
	v_cndmask_b32_e64 v51, 0, 0x195, s0
	s_barrier_signal -1
	s_barrier_wait -1
	global_inv scope:SCOPE_SE
	v_add_lshl_u32 v51, v59, v51, 2
	v_lshrrev_b32_e32 v63, 16, v16
	v_lshrrev_b32_e32 v62, 16, v17
	s_delay_alu instid0(VALU_DEP_2) | instskip(SKIP_1) | instid1(VALU_DEP_3)
	v_mul_f16_e32 v59, v64, v63
	v_mul_f16_e32 v69, v58, v63
	;; [unrolled: 1-line block ×4, first 2 shown]
	s_delay_alu instid0(VALU_DEP_4) | instskip(NEXT) | instid1(VALU_DEP_4)
	v_fma_f16 v58, v58, v16, -v59
	v_fmac_f16_e32 v69, v64, v16
	s_delay_alu instid0(VALU_DEP_4) | instskip(NEXT) | instid1(VALU_DEP_4)
	v_fma_f16 v57, v57, v17, -v70
	v_fmac_f16_e32 v71, v68, v17
	v_lshrrev_b32_e32 v64, 16, v14
	v_lshrrev_b32_e32 v59, 16, v15
	v_add_f16_e32 v68, v56, v58
	v_add_f16_e32 v73, v67, v69
	;; [unrolled: 1-line block ×3, first 2 shown]
	v_mul_f16_e32 v74, v23, v64
	v_mul_f16_e32 v75, v22, v64
	;; [unrolled: 1-line block ×4, first 2 shown]
	v_sub_f16_e32 v72, v69, v71
	v_add_f16_e32 v69, v69, v71
	v_sub_f16_e32 v58, v58, v57
	v_add_f16_e32 v57, v68, v57
	v_add_f16_e32 v68, v73, v71
	v_fma_f16 v22, v22, v14, -v74
	v_fmac_f16_e32 v75, v23, v14
	v_fma_f16 v20, v20, v15, -v76
	v_fmac_f16_e32 v77, v21, v15
	v_fmac_f16_e32 v56, -0.5, v70
	v_fmac_f16_e32 v67, -0.5, v69
	v_pack_b32_f16 v57, v57, v68
	v_add_f16_e32 v68, v22, v20
	v_add_f16_e32 v71, v75, v77
	v_fmamk_f16 v21, v72, 0x3aee, v56
	v_fmac_f16_e32 v56, 0xbaee, v72
	v_fmamk_f16 v23, v58, 0xbaee, v67
	v_fmac_f16_e32 v67, 0x3aee, v58
	v_add_f16_e32 v58, v65, v22
	v_sub_f16_e32 v70, v75, v77
	v_add_f16_e32 v69, v66, v75
	v_sub_f16_e32 v22, v22, v20
	v_fmac_f16_e32 v65, -0.5, v68
	v_fmac_f16_e32 v66, -0.5, v71
	v_pack_b32_f16 v21, v21, v23
	v_pack_b32_f16 v23, v56, v67
	v_add_f16_e32 v67, v58, v20
	v_add_f16_e32 v68, v69, v77
	v_fmamk_f16 v69, v70, 0x3aee, v65
	v_fmac_f16_e32 v65, 0xbaee, v70
	v_fmamk_f16 v71, v22, 0xbaee, v66
	v_fmac_f16_e32 v66, 0x3aee, v22
	v_mad_u16 v56, 0x195, v61, v60
	ds_store_2addr_b32 v51, v57, v21 offset1:135
	ds_store_b32 v51, v23 offset:1080
	s_and_saveexec_b32 s0, vcc_lo
	s_cbranch_execz .LBB0_17
; %bb.16:
	v_and_b32_e32 v20, 0xffff, v56
	v_perm_b32 v21, v68, v67, 0x5040100
	v_perm_b32 v22, v71, v69, 0x5040100
	;; [unrolled: 1-line block ×3, first 2 shown]
	s_delay_alu instid0(VALU_DEP_4)
	v_lshlrev_b32_e32 v20, 2, v20
	ds_store_2addr_b32 v20, v21, v22 offset1:135
	ds_store_b32 v20, v23 offset:1080
.LBB0_17:
	s_wait_alu 0xfffe
	s_or_b32 exec_lo, exec_lo, s0
	global_wb scope:SCOPE_SE
	s_wait_dscnt 0x0
	s_barrier_signal -1
	s_barrier_wait -1
	global_inv scope:SCOPE_SE
	ds_load_b32 v70, v24
	ds_load_b32 v58, v24 offset:1620
	ds_load_b32 v57, v24 offset:3240
	v_add_co_u32 v22, s0, s8, v24
	s_wait_alu 0xf1ff
	v_add_co_ci_u32_e64 v23, null, s9, 0, s0
	s_and_saveexec_b32 s0, vcc_lo
	s_cbranch_execz .LBB0_19
; %bb.18:
	ds_load_b32 v67, v24 offset:972
	ds_load_b32 v69, v24 offset:2592
	;; [unrolled: 1-line block ×3, first 2 shown]
	s_wait_dscnt 0x2
	v_lshrrev_b32_e32 v68, 16, v67
	s_wait_dscnt 0x1
	v_lshrrev_b32_e32 v71, 16, v69
	;; [unrolled: 2-line block ×3, first 2 shown]
.LBB0_19:
	s_wait_alu 0xfffe
	s_or_b32 exec_lo, exec_lo, s0
	v_add_co_u32 v60, s0, 0xffffff5e, v28
	s_wait_alu 0xf1ff
	v_add_co_ci_u32_e64 v61, null, 0, -1, s0
	v_lshlrev_b32_e32 v20, 3, v28
	s_delay_alu instid0(VALU_DEP_3)
	v_cndmask_b32_e32 v18, v60, v18, vcc_lo
	s_wait_dscnt 0x1
	v_lshrrev_b32_e32 v72, 16, v58
	v_cndmask_b32_e32 v19, v61, v19, vcc_lo
	s_wait_dscnt 0x0
	v_lshrrev_b32_e32 v73, 16, v57
	global_load_b64 v[20:21], v20, s[10:11] offset:1600
	v_lshrrev_b32_e32 v78, 16, v70
	v_lshlrev_b64_e32 v[18:19], 3, v[18:19]
	s_delay_alu instid0(VALU_DEP_1) | instskip(SKIP_1) | instid1(VALU_DEP_2)
	v_add_co_u32 v18, s0, s10, v18
	s_wait_alu 0xf1ff
	v_add_co_ci_u32_e64 v19, s0, s11, v19, s0
	global_load_b64 v[18:19], v[18:19], off offset:1600
	s_wait_loadcnt 0x1
	v_lshrrev_b32_e32 v60, 16, v20
	v_lshrrev_b32_e32 v61, 16, v21
	s_delay_alu instid0(VALU_DEP_2) | instskip(SKIP_1) | instid1(VALU_DEP_3)
	v_mul_f16_e32 v74, v72, v60
	v_mul_f16_e32 v75, v58, v60
	;; [unrolled: 1-line block ×4, first 2 shown]
	s_delay_alu instid0(VALU_DEP_4) | instskip(NEXT) | instid1(VALU_DEP_4)
	v_fma_f16 v58, v58, v20, -v74
	v_fmac_f16_e32 v75, v72, v20
	s_delay_alu instid0(VALU_DEP_4) | instskip(NEXT) | instid1(VALU_DEP_4)
	v_fma_f16 v72, v57, v21, -v76
	v_fmac_f16_e32 v77, v73, v21
	s_delay_alu instid0(VALU_DEP_4) | instskip(NEXT) | instid1(VALU_DEP_4)
	v_add_f16_e32 v73, v70, v58
	v_add_f16_e32 v79, v78, v75
	s_delay_alu instid0(VALU_DEP_4)
	v_add_f16_e32 v74, v58, v72
	v_sub_f16_e32 v80, v58, v72
	s_wait_loadcnt 0x0
	v_lshrrev_b32_e32 v58, 16, v18
	v_lshrrev_b32_e32 v57, 16, v19
	v_sub_f16_e32 v76, v75, v77
	v_add_f16_e32 v75, v75, v77
	v_add_f16_e32 v81, v73, v72
	v_fmac_f16_e32 v70, -0.5, v74
	v_add_f16_e32 v79, v79, v77
	v_mul_f16_e32 v74, v71, v58
	v_mul_f16_e32 v73, v69, v58
	;; [unrolled: 1-line block ×4, first 2 shown]
	v_fmac_f16_e32 v78, -0.5, v75
	v_fma_f16 v74, v69, v18, -v74
	v_fmac_f16_e32 v73, v71, v18
	v_fma_f16 v69, v65, v19, -v77
	v_fmac_f16_e32 v72, v66, v19
	v_fmamk_f16 v65, v76, 0x3aee, v70
	v_fmac_f16_e32 v70, 0xbaee, v76
	v_fmamk_f16 v66, v80, 0xbaee, v78
	v_add_f16_e32 v71, v74, v69
	v_add_f16_e32 v76, v73, v72
	v_sub_f16_e32 v75, v73, v72
	v_sub_f16_e32 v77, v74, v69
	v_fmac_f16_e32 v78, 0x3aee, v80
	v_fma_f16 v71, -0.5, v71, v67
	v_fma_f16 v76, -0.5, v76, v68
	v_pack_b32_f16 v79, v81, v79
	v_pack_b32_f16 v80, v65, v66
	v_pack_b32_f16 v70, v70, v78
	v_fmamk_f16 v65, v75, 0xbaee, v71
	v_fmamk_f16 v66, v77, 0x3aee, v76
	ds_store_b32 v24, v79
	ds_store_b32 v24, v80 offset:1620
	ds_store_b32 v24, v70 offset:3240
	s_and_saveexec_b32 s0, vcc_lo
	s_cbranch_execz .LBB0_21
; %bb.20:
	v_add_f16_e32 v68, v68, v73
	v_add_f16_e32 v67, v67, v74
	v_mul_f16_e32 v70, 0x3aee, v77
	v_mul_f16_e32 v73, 0x3aee, v75
	s_delay_alu instid0(VALU_DEP_4) | instskip(NEXT) | instid1(VALU_DEP_4)
	v_add_f16_e32 v68, v68, v72
	v_add_f16_e32 v67, v67, v69
	s_delay_alu instid0(VALU_DEP_4) | instskip(NEXT) | instid1(VALU_DEP_4)
	v_sub_f16_e32 v70, v76, v70
	v_add_f16_e32 v69, v73, v71
	s_delay_alu instid0(VALU_DEP_3) | instskip(NEXT) | instid1(VALU_DEP_2)
	v_pack_b32_f16 v67, v67, v68
	v_pack_b32_f16 v68, v69, v70
	v_perm_b32 v69, v66, v65, 0x5040100
	ds_store_b32 v24, v67 offset:972
	ds_store_b32 v24, v68 offset:2592
	;; [unrolled: 1-line block ×3, first 2 shown]
.LBB0_21:
	s_wait_alu 0xfffe
	s_or_b32 exec_lo, exec_lo, s0
	s_add_nc_u64 s[0:1], s[8:9], 0x12fc
	global_wb scope:SCOPE_SE
	s_wait_dscnt 0x0
	s_barrier_signal -1
	s_barrier_wait -1
	global_inv scope:SCOPE_SE
	s_clause 0x4
	global_load_b32 v67, v[22:23], off offset:4860
	global_load_b32 v68, v24, s[0:1] offset:972
	global_load_b32 v69, v24, s[0:1] offset:1944
	;; [unrolled: 1-line block ×4, first 2 shown]
	ds_load_2addr_b32 v[22:23], v24 offset1:243
	s_wait_dscnt 0x0
	v_lshrrev_b32_e32 v72, 16, v22
	v_lshrrev_b32_e32 v74, 16, v23
	s_wait_loadcnt 0x4
	v_lshrrev_b32_e32 v73, 16, v67
	s_wait_loadcnt 0x3
	v_lshrrev_b32_e32 v75, 16, v68
	s_delay_alu instid0(VALU_DEP_2) | instskip(SKIP_1) | instid1(VALU_DEP_3)
	v_mul_f16_e32 v76, v72, v73
	v_mul_f16_e32 v73, v22, v73
	;; [unrolled: 1-line block ×4, first 2 shown]
	s_delay_alu instid0(VALU_DEP_4) | instskip(NEXT) | instid1(VALU_DEP_4)
	v_fma_f16 v22, v22, v67, -v76
	v_fmac_f16_e32 v73, v72, v67
	s_delay_alu instid0(VALU_DEP_4) | instskip(NEXT) | instid1(VALU_DEP_4)
	v_fma_f16 v23, v23, v68, -v77
	v_fmac_f16_e32 v75, v74, v68
	v_add_nc_u32_e32 v67, 0x780, v24
	s_wait_loadcnt 0x2
	v_lshrrev_b32_e32 v72, 16, v69
	v_pack_b32_f16 v22, v22, v73
	s_wait_loadcnt 0x1
	v_lshrrev_b32_e32 v73, 16, v70
	v_pack_b32_f16 v23, v23, v75
	s_wait_loadcnt 0x0
	v_lshrrev_b32_e32 v74, 16, v71
	ds_store_2addr_b32 v24, v22, v23 offset1:243
	ds_load_2addr_b32 v[22:23], v67 offset0:6 offset1:249
	ds_load_b32 v68, v24 offset:3888
	s_wait_dscnt 0x1
	v_lshrrev_b32_e32 v75, 16, v22
	v_lshrrev_b32_e32 v77, 16, v23
	s_wait_dscnt 0x0
	v_lshrrev_b32_e32 v79, 16, v68
	v_mul_f16_e32 v76, v22, v72
	v_mul_f16_e32 v78, v23, v73
	;; [unrolled: 1-line block ×6, first 2 shown]
	v_fmac_f16_e32 v76, v75, v69
	v_fmac_f16_e32 v78, v77, v70
	v_fma_f16 v22, v22, v69, -v72
	v_fma_f16 v23, v23, v70, -v73
	v_fmac_f16_e32 v80, v79, v71
	v_fma_f16 v68, v68, v71, -v74
	s_delay_alu instid0(VALU_DEP_4) | instskip(NEXT) | instid1(VALU_DEP_4)
	v_pack_b32_f16 v22, v22, v76
	v_pack_b32_f16 v23, v23, v78
	s_delay_alu instid0(VALU_DEP_3)
	v_pack_b32_f16 v68, v68, v80
	ds_store_2addr_b32 v67, v22, v23 offset0:6 offset1:249
	ds_store_b32 v24, v68 offset:3888
	global_wb scope:SCOPE_SE
	s_wait_dscnt 0x0
	s_barrier_signal -1
	s_barrier_wait -1
	global_inv scope:SCOPE_SE
	ds_load_2addr_b32 v[22:23], v24 offset1:243
	ds_load_2addr_b32 v[67:68], v67 offset0:6 offset1:249
	ds_load_b32 v69, v24 offset:3888
	global_wb scope:SCOPE_SE
	s_wait_dscnt 0x0
	s_barrier_signal -1
	s_barrier_wait -1
	global_inv scope:SCOPE_SE
	v_pk_add_f16 v70, v22, v23
	v_pk_add_f16 v71, v67, v68
	v_pk_add_f16 v72, v23, v69 neg_lo:[0,1] neg_hi:[0,1]
	v_pk_add_f16 v73, v67, v68 neg_lo:[0,1] neg_hi:[0,1]
	v_pk_add_f16 v76, v23, v69
	v_pk_add_f16 v74, v23, v67 neg_lo:[0,1] neg_hi:[0,1]
	v_pk_fma_f16 v71, v71, 0.5, v22 op_sel_hi:[1,0,1] neg_lo:[1,0,0] neg_hi:[1,0,0]
	v_pk_mul_f16 v78, 0x3b9c, v72 op_sel_hi:[0,1]
	v_pk_mul_f16 v72, 0x38b4, v72 op_sel_hi:[0,1]
	v_pk_fma_f16 v22, v76, 0.5, v22 op_sel_hi:[1,0,1] neg_lo:[1,0,0] neg_hi:[1,0,0]
	v_pk_mul_f16 v76, 0x3b9c, v73 op_sel_hi:[0,1]
	v_pk_mul_f16 v73, 0x38b4, v73 op_sel_hi:[0,1]
	v_pk_add_f16 v79, v71, v78 op_sel:[0,1] op_sel_hi:[1,0] neg_lo:[0,1] neg_hi:[0,1]
	v_pk_add_f16 v71, v71, v78 op_sel:[0,1] op_sel_hi:[1,0]
	v_pk_add_f16 v75, v69, v68 neg_lo:[0,1] neg_hi:[0,1]
	v_pk_add_f16 v78, v22, v76 op_sel:[0,1] op_sel_hi:[1,0]
	v_pk_add_f16 v22, v22, v76 op_sel:[0,1] op_sel_hi:[1,0] neg_lo:[0,1] neg_hi:[0,1]
	v_pk_add_f16 v23, v67, v23 neg_lo:[0,1] neg_hi:[0,1]
	v_pk_add_f16 v67, v70, v67
	v_pk_add_f16 v70, v79, v73 op_sel:[0,1] op_sel_hi:[1,0] neg_lo:[0,1] neg_hi:[0,1]
	v_pk_add_f16 v71, v71, v73 op_sel:[0,1] op_sel_hi:[1,0]
	v_pk_add_f16 v77, v68, v69 neg_lo:[0,1] neg_hi:[0,1]
	v_pk_add_f16 v73, v78, v72 op_sel:[0,1] op_sel_hi:[1,0] neg_lo:[0,1] neg_hi:[0,1]
	v_pk_add_f16 v22, v22, v72 op_sel:[0,1] op_sel_hi:[1,0]
	v_pk_add_f16 v72, v74, v75
	v_pk_add_f16 v67, v67, v68
	v_bfi_b32 v68, 0xffff, v70, v71
	v_pk_add_f16 v23, v23, v77
	v_bfi_b32 v74, 0xffff, v73, v22
	v_bfi_b32 v22, 0xffff, v22, v73
	;; [unrolled: 1-line block ×3, first 2 shown]
	v_pk_add_f16 v69, v67, v69
	v_pk_fma_f16 v68, 0x34f2, v72, v68 op_sel_hi:[0,1,1]
	v_pk_fma_f16 v71, 0x34f2, v23, v74 op_sel_hi:[0,1,1]
	v_pk_fma_f16 v22, 0x34f2, v23, v22 op_sel_hi:[0,1,1]
	v_pk_fma_f16 v67, 0x34f2, v72, v70 op_sel_hi:[0,1,1]
	ds_store_2addr_b32 v37, v69, v68 offset1:1
	ds_store_2addr_b32 v37, v71, v22 offset0:2 offset1:3
	ds_store_b32 v37, v67 offset:16
	global_wb scope:SCOPE_SE
	s_wait_dscnt 0x0
	s_barrier_signal -1
	s_barrier_wait -1
	global_inv scope:SCOPE_SE
	ds_load_b32 v37, v24
	ds_load_b32 v68, v24 offset:1620
	ds_load_b32 v69, v24 offset:3240
	v_lshrrev_b32_e32 v23, 16, v22
	v_lshrrev_b32_e32 v70, 16, v67
	s_and_saveexec_b32 s0, vcc_lo
	s_cbranch_execz .LBB0_23
; %bb.22:
	ds_load_b32 v22, v24 offset:972
	ds_load_b32 v67, v24 offset:2592
	;; [unrolled: 1-line block ×3, first 2 shown]
	s_wait_dscnt 0x2
	v_lshrrev_b32_e32 v23, 16, v22
	s_wait_dscnt 0x1
	v_lshrrev_b32_e32 v70, 16, v67
	;; [unrolled: 2-line block ×3, first 2 shown]
.LBB0_23:
	s_wait_alu 0xfffe
	s_or_b32 exec_lo, exec_lo, s0
	s_wait_dscnt 0x1
	v_lshrrev_b32_e32 v71, 16, v68
	s_wait_dscnt 0x0
	v_lshrrev_b32_e32 v72, 16, v69
	v_mul_f16_e32 v74, v44, v68
	v_mul_f16_e32 v76, v43, v70
	v_lshrrev_b32_e32 v73, 16, v37
	v_mul_f16_e32 v44, v44, v71
	v_mul_f16_e32 v75, v42, v72
	;; [unrolled: 1-line block ×3, first 2 shown]
	v_fma_f16 v71, v4, v71, -v74
	v_fmac_f16_e32 v76, v2, v67
	v_fmac_f16_e32 v44, v4, v68
	v_fmac_f16_e32 v75, v5, v69
	v_mul_f16_e32 v4, v43, v67
	v_fma_f16 v5, v5, v72, -v42
	v_mul_f16_e32 v42, v41, v66
	v_mul_f16_e32 v41, v41, v65
	v_add_f16_e32 v43, v37, v44
	v_fma_f16 v2, v2, v70, -v4
	v_add_f16_e32 v4, v44, v75
	v_fmac_f16_e32 v42, v3, v65
	v_fma_f16 v3, v3, v66, -v41
	v_add_f16_e32 v41, v71, v5
	v_add_f16_e32 v65, v73, v71
	v_fmac_f16_e32 v37, -0.5, v4
	v_sub_f16_e32 v4, v71, v5
	v_add_f16_e32 v43, v43, v75
	v_fmac_f16_e32 v73, -0.5, v41
	v_sub_f16_e32 v41, v44, v75
	v_add_f16_e32 v65, v65, v5
	v_fmamk_f16 v44, v4, 0xbaee, v37
	v_fmac_f16_e32 v37, 0x3aee, v4
	v_add_f16_e32 v4, v76, v42
	v_add_f16_e32 v5, v2, v3
	v_fmamk_f16 v66, v41, 0x3aee, v73
	v_fmac_f16_e32 v73, 0xbaee, v41
	v_add_f16_e32 v41, v22, v76
	v_fmac_f16_e32 v22, -0.5, v4
	v_sub_f16_e32 v67, v2, v3
	v_add_f16_e32 v68, v23, v2
	v_fmac_f16_e32 v23, -0.5, v5
	v_sub_f16_e32 v69, v76, v42
	v_add_f16_e32 v2, v41, v42
	v_fmamk_f16 v4, v67, 0xbaee, v22
	v_fmac_f16_e32 v22, 0x3aee, v67
	v_add_f16_e32 v3, v68, v3
	v_fmamk_f16 v5, v69, 0x3aee, v23
	v_fmac_f16_e32 v23, 0xbaee, v69
	v_pack_b32_f16 v41, v43, v65
	v_pack_b32_f16 v42, v44, v66
	;; [unrolled: 1-line block ×3, first 2 shown]
	global_wb scope:SCOPE_SE
	s_barrier_signal -1
	s_barrier_wait -1
	global_inv scope:SCOPE_SE
	ds_store_2addr_b32 v38, v41, v42 offset1:5
	ds_store_b32 v38, v37 offset:40
	s_and_saveexec_b32 s0, vcc_lo
	s_cbranch_execz .LBB0_25
; %bb.24:
	v_mad_u16 v35, v35, 15, v36
	v_perm_b32 v36, v3, v2, 0x5040100
	v_perm_b32 v37, v5, v4, 0x5040100
	;; [unrolled: 1-line block ×3, first 2 shown]
	s_delay_alu instid0(VALU_DEP_4) | instskip(NEXT) | instid1(VALU_DEP_1)
	v_and_b32_e32 v35, 0xffff, v35
	v_lshlrev_b32_e32 v35, 2, v35
	ds_store_2addr_b32 v35, v36, v37 offset1:5
	ds_store_b32 v35, v38 offset:40
.LBB0_25:
	s_wait_alu 0xfffe
	s_or_b32 exec_lo, exec_lo, s0
	global_wb scope:SCOPE_SE
	s_wait_dscnt 0x0
	s_barrier_signal -1
	s_barrier_wait -1
	global_inv scope:SCOPE_SE
	ds_load_b32 v35, v24
	ds_load_b32 v36, v24 offset:1620
	ds_load_b32 v37, v24 offset:3240
	s_and_saveexec_b32 s0, vcc_lo
	s_cbranch_execz .LBB0_27
; %bb.26:
	ds_load_b32 v2, v24 offset:972
	ds_load_b32 v4, v24 offset:2592
	ds_load_b32 v22, v24 offset:4212
	s_wait_dscnt 0x2
	v_lshrrev_b32_e32 v3, 16, v2
	s_wait_dscnt 0x1
	v_lshrrev_b32_e32 v5, 16, v4
	;; [unrolled: 2-line block ×3, first 2 shown]
.LBB0_27:
	s_wait_alu 0xfffe
	s_or_b32 exec_lo, exec_lo, s0
	s_wait_dscnt 0x1
	v_lshrrev_b32_e32 v38, 16, v36
	s_wait_dscnt 0x0
	v_lshrrev_b32_e32 v41, 16, v37
	v_mul_f16_e32 v43, v50, v36
	v_mul_f16_e32 v65, v48, v5
	v_lshrrev_b32_e32 v42, 16, v35
	v_mul_f16_e32 v44, v50, v38
	v_mul_f16_e32 v50, v49, v41
	v_mul_f16_e32 v49, v49, v37
	v_fma_f16 v38, v8, v38, -v43
	v_fmac_f16_e32 v65, v6, v4
	v_fmac_f16_e32 v44, v8, v36
	v_fmac_f16_e32 v50, v9, v37
	v_mul_f16_e32 v8, v48, v4
	v_fma_f16 v9, v9, v41, -v49
	v_mul_f16_e32 v36, v47, v23
	v_mul_f16_e32 v4, v47, v22
	global_wb scope:SCOPE_SE
	v_fma_f16 v5, v6, v5, -v8
	v_add_f16_e32 v6, v44, v50
	v_fmac_f16_e32 v36, v7, v22
	v_fma_f16 v22, v7, v23, -v4
	v_add_f16_e32 v4, v38, v9
	v_add_f16_e32 v8, v35, v44
	v_fmac_f16_e32 v35, -0.5, v6
	v_sub_f16_e32 v6, v38, v9
	v_add_f16_e32 v7, v42, v38
	v_fmac_f16_e32 v42, -0.5, v4
	v_sub_f16_e32 v4, v44, v50
	v_add_f16_e32 v23, v8, v50
	v_fmamk_f16 v37, v6, 0xbaee, v35
	v_fmac_f16_e32 v35, 0x3aee, v6
	v_add_f16_e32 v6, v7, v9
	v_add_f16_e32 v7, v65, v36
	v_fmamk_f16 v9, v4, 0x3aee, v42
	v_fmac_f16_e32 v42, 0xbaee, v4
	v_add_f16_e32 v4, v5, v22
	v_add_f16_e32 v8, v2, v65
	v_fmac_f16_e32 v2, -0.5, v7
	v_sub_f16_e32 v38, v5, v22
	v_add_f16_e32 v5, v3, v5
	v_fmac_f16_e32 v3, -0.5, v4
	v_sub_f16_e32 v41, v65, v36
	v_add_f16_e32 v4, v8, v36
	v_fmamk_f16 v7, v38, 0xbaee, v2
	v_fmac_f16_e32 v2, 0x3aee, v38
	v_add_f16_e32 v5, v5, v22
	v_fmamk_f16 v8, v41, 0x3aee, v3
	v_fmac_f16_e32 v3, 0xbaee, v41
	v_pack_b32_f16 v6, v23, v6
	v_pack_b32_f16 v9, v37, v9
	;; [unrolled: 1-line block ×3, first 2 shown]
	s_barrier_signal -1
	s_barrier_wait -1
	global_inv scope:SCOPE_SE
	ds_store_2addr_b32 v40, v6, v9 offset1:15
	ds_store_b32 v40, v22 offset:120
	s_and_saveexec_b32 s0, vcc_lo
	s_cbranch_execz .LBB0_29
; %bb.28:
	v_and_b32_e32 v6, 0xffff, v39
	v_perm_b32 v9, v5, v4, 0x5040100
	v_perm_b32 v22, v8, v7, 0x5040100
	;; [unrolled: 1-line block ×3, first 2 shown]
	s_delay_alu instid0(VALU_DEP_4)
	v_lshlrev_b32_e32 v6, 2, v6
	ds_store_2addr_b32 v6, v9, v22 offset1:15
	ds_store_b32 v6, v23 offset:120
.LBB0_29:
	s_wait_alu 0xfffe
	s_or_b32 exec_lo, exec_lo, s0
	global_wb scope:SCOPE_SE
	s_wait_dscnt 0x0
	s_barrier_signal -1
	s_barrier_wait -1
	global_inv scope:SCOPE_SE
	ds_load_b32 v6, v24
	ds_load_b32 v9, v24 offset:1620
	ds_load_b32 v22, v24 offset:3240
	s_and_saveexec_b32 s0, vcc_lo
	s_cbranch_execz .LBB0_31
; %bb.30:
	ds_load_b32 v4, v24 offset:972
	ds_load_b32 v7, v24 offset:2592
	;; [unrolled: 1-line block ×3, first 2 shown]
	s_wait_dscnt 0x2
	v_lshrrev_b32_e32 v5, 16, v4
	s_wait_dscnt 0x1
	v_lshrrev_b32_e32 v8, 16, v7
	;; [unrolled: 2-line block ×3, first 2 shown]
.LBB0_31:
	s_wait_alu 0xfffe
	s_or_b32 exec_lo, exec_lo, s0
	s_wait_dscnt 0x1
	v_lshrrev_b32_e32 v23, 16, v9
	s_wait_dscnt 0x0
	v_lshrrev_b32_e32 v35, 16, v22
	v_mul_f16_e32 v37, v55, v9
	v_mul_f16_e32 v40, v54, v22
	;; [unrolled: 1-line block ×5, first 2 shown]
	v_fma_f16 v23, v12, v23, -v37
	v_lshrrev_b32_e32 v36, 16, v6
	v_fmac_f16_e32 v41, v10, v7
	v_fmac_f16_e32 v38, v12, v9
	;; [unrolled: 1-line block ×3, first 2 shown]
	v_mul_f16_e32 v9, v53, v7
	v_fma_f16 v12, v13, v35, -v40
	v_mul_f16_e32 v13, v52, v3
	v_mul_f16_e32 v7, v52, v2
	global_wb scope:SCOPE_SE
	v_fma_f16 v8, v10, v8, -v9
	v_add_f16_e32 v9, v38, v39
	v_fmac_f16_e32 v13, v11, v2
	v_add_f16_e32 v2, v6, v38
	v_fma_f16 v3, v11, v3, -v7
	v_add_f16_e32 v7, v23, v12
	v_fmac_f16_e32 v6, -0.5, v9
	v_sub_f16_e32 v9, v23, v12
	v_add_f16_e32 v10, v2, v39
	v_add_f16_e32 v2, v36, v23
	v_fmac_f16_e32 v36, -0.5, v7
	v_sub_f16_e32 v7, v38, v39
	v_fmamk_f16 v11, v9, 0xbaee, v6
	v_fmac_f16_e32 v6, 0x3aee, v9
	v_add_f16_e32 v12, v2, v12
	v_add_f16_e32 v2, v41, v13
	v_fmamk_f16 v22, v7, 0x3aee, v36
	v_fmac_f16_e32 v36, 0xbaee, v7
	v_add_f16_e32 v7, v8, v3
	v_add_f16_e32 v9, v4, v41
	v_fmac_f16_e32 v4, -0.5, v2
	v_sub_f16_e32 v23, v8, v3
	v_add_f16_e32 v8, v5, v8
	v_fmac_f16_e32 v5, -0.5, v7
	v_sub_f16_e32 v35, v41, v13
	v_add_f16_e32 v2, v9, v13
	v_fmamk_f16 v7, v23, 0xbaee, v4
	v_fmac_f16_e32 v4, 0x3aee, v23
	v_add_f16_e32 v3, v8, v3
	v_fmamk_f16 v9, v35, 0x3aee, v5
	v_fmac_f16_e32 v5, 0xbaee, v35
	v_pack_b32_f16 v8, v10, v12
	v_pack_b32_f16 v10, v11, v22
	v_pack_b32_f16 v6, v6, v36
	s_barrier_signal -1
	s_barrier_wait -1
	global_inv scope:SCOPE_SE
	ds_store_2addr_b32 v46, v8, v10 offset1:45
	ds_store_b32 v46, v6 offset:360
	s_and_saveexec_b32 s0, vcc_lo
	s_cbranch_execz .LBB0_33
; %bb.32:
	v_and_b32_e32 v6, 0xffff, v45
	v_perm_b32 v8, v3, v2, 0x5040100
	v_perm_b32 v10, v9, v7, 0x5040100
	;; [unrolled: 1-line block ×3, first 2 shown]
	s_delay_alu instid0(VALU_DEP_4)
	v_lshlrev_b32_e32 v6, 2, v6
	ds_store_2addr_b32 v6, v8, v10 offset1:45
	ds_store_b32 v6, v11 offset:360
.LBB0_33:
	s_wait_alu 0xfffe
	s_or_b32 exec_lo, exec_lo, s0
	global_wb scope:SCOPE_SE
	s_wait_dscnt 0x0
	s_barrier_signal -1
	s_barrier_wait -1
	global_inv scope:SCOPE_SE
	ds_load_b32 v8, v24
	ds_load_b32 v6, v24 offset:1620
	ds_load_b32 v10, v24 offset:3240
	s_and_saveexec_b32 s0, vcc_lo
	s_cbranch_execz .LBB0_35
; %bb.34:
	ds_load_b32 v2, v24 offset:972
	ds_load_b32 v7, v24 offset:2592
	;; [unrolled: 1-line block ×3, first 2 shown]
	s_wait_dscnt 0x2
	v_lshrrev_b32_e32 v3, 16, v2
	s_wait_dscnt 0x1
	v_lshrrev_b32_e32 v9, 16, v7
	;; [unrolled: 2-line block ×3, first 2 shown]
.LBB0_35:
	s_wait_alu 0xfffe
	s_or_b32 exec_lo, exec_lo, s0
	s_wait_dscnt 0x1
	v_lshrrev_b32_e32 v11, 16, v6
	s_wait_dscnt 0x0
	v_lshrrev_b32_e32 v12, 16, v10
	v_mul_f16_e32 v22, v63, v6
	v_mul_f16_e32 v36, v62, v10
	;; [unrolled: 1-line block ×5, first 2 shown]
	v_fma_f16 v11, v16, v11, -v22
	v_lshrrev_b32_e32 v13, 16, v8
	v_fmac_f16_e32 v37, v14, v7
	v_fmac_f16_e32 v23, v16, v6
	;; [unrolled: 1-line block ×3, first 2 shown]
	v_mul_f16_e32 v6, v64, v7
	v_fma_f16 v10, v17, v12, -v36
	v_mul_f16_e32 v12, v59, v5
	v_mul_f16_e32 v7, v59, v4
	global_wb scope:SCOPE_SE
	v_fma_f16 v6, v14, v9, -v6
	v_add_f16_e32 v9, v23, v35
	v_fmac_f16_e32 v12, v15, v4
	v_add_f16_e32 v4, v8, v23
	v_fma_f16 v5, v15, v5, -v7
	v_add_f16_e32 v7, v11, v10
	v_fmac_f16_e32 v8, -0.5, v9
	v_sub_f16_e32 v9, v11, v10
	v_add_f16_e32 v14, v4, v35
	v_add_f16_e32 v4, v13, v11
	v_fmac_f16_e32 v13, -0.5, v7
	v_sub_f16_e32 v7, v23, v35
	v_fmamk_f16 v11, v9, 0xbaee, v8
	v_fmac_f16_e32 v8, 0x3aee, v9
	v_add_f16_e32 v9, v4, v10
	v_add_f16_e32 v4, v37, v12
	v_fmamk_f16 v10, v7, 0x3aee, v13
	v_fmac_f16_e32 v13, 0xbaee, v7
	v_add_f16_e32 v7, v6, v5
	v_add_f16_e32 v15, v2, v37
	v_fmac_f16_e32 v2, -0.5, v4
	v_sub_f16_e32 v16, v6, v5
	v_add_f16_e32 v17, v3, v6
	v_fmac_f16_e32 v3, -0.5, v7
	v_sub_f16_e32 v22, v37, v12
	v_add_f16_e32 v4, v15, v12
	v_fmamk_f16 v6, v16, 0xbaee, v2
	v_fmac_f16_e32 v2, 0x3aee, v16
	v_add_f16_e32 v5, v17, v5
	v_fmamk_f16 v7, v22, 0x3aee, v3
	v_fmac_f16_e32 v3, 0xbaee, v22
	v_pack_b32_f16 v9, v14, v9
	v_pack_b32_f16 v10, v11, v10
	;; [unrolled: 1-line block ×3, first 2 shown]
	s_barrier_signal -1
	s_barrier_wait -1
	global_inv scope:SCOPE_SE
	ds_store_2addr_b32 v51, v9, v10 offset1:135
	ds_store_b32 v51, v8 offset:1080
	s_and_saveexec_b32 s0, vcc_lo
	s_cbranch_execz .LBB0_37
; %bb.36:
	v_and_b32_e32 v8, 0xffff, v56
	v_perm_b32 v9, v5, v4, 0x5040100
	v_perm_b32 v10, v7, v6, 0x5040100
	v_perm_b32 v11, v3, v2, 0x5040100
	s_delay_alu instid0(VALU_DEP_4)
	v_lshlrev_b32_e32 v8, 2, v8
	ds_store_2addr_b32 v8, v9, v10 offset1:135
	ds_store_b32 v8, v11 offset:1080
.LBB0_37:
	s_wait_alu 0xfffe
	s_or_b32 exec_lo, exec_lo, s0
	global_wb scope:SCOPE_SE
	s_wait_dscnt 0x0
	s_barrier_signal -1
	s_barrier_wait -1
	global_inv scope:SCOPE_SE
	ds_load_b32 v8, v24
	ds_load_b32 v9, v24 offset:1620
	ds_load_b32 v10, v24 offset:3240
	s_and_saveexec_b32 s0, vcc_lo
	s_cbranch_execz .LBB0_39
; %bb.38:
	ds_load_b32 v4, v24 offset:972
	ds_load_b32 v6, v24 offset:2592
	;; [unrolled: 1-line block ×3, first 2 shown]
	s_wait_dscnt 0x2
	v_lshrrev_b32_e32 v5, 16, v4
	s_wait_dscnt 0x1
	v_lshrrev_b32_e32 v7, 16, v6
	;; [unrolled: 2-line block ×3, first 2 shown]
.LBB0_39:
	s_wait_alu 0xfffe
	s_or_b32 exec_lo, exec_lo, s0
	s_wait_dscnt 0x1
	v_lshrrev_b32_e32 v11, 16, v9
	s_wait_dscnt 0x0
	v_lshrrev_b32_e32 v12, 16, v10
	v_mul_f16_e32 v13, v60, v9
	v_mul_f16_e32 v14, v61, v10
	v_mul_f16_e32 v15, v60, v11
	s_delay_alu instid0(VALU_DEP_4) | instskip(NEXT) | instid1(VALU_DEP_4)
	v_mul_f16_e32 v16, v61, v12
	v_fma_f16 v11, v20, v11, -v13
	s_delay_alu instid0(VALU_DEP_4) | instskip(SKIP_3) | instid1(VALU_DEP_4)
	v_fma_f16 v12, v21, v12, -v14
	v_lshrrev_b32_e32 v13, 16, v8
	v_fmac_f16_e32 v15, v20, v9
	v_fmac_f16_e32 v16, v21, v10
	v_add_f16_e32 v9, v11, v12
	s_delay_alu instid0(VALU_DEP_4) | instskip(NEXT) | instid1(VALU_DEP_4)
	v_add_f16_e32 v10, v13, v11
	v_add_f16_e32 v17, v8, v15
	s_delay_alu instid0(VALU_DEP_4)
	v_add_f16_e32 v14, v15, v16
	v_sub_f16_e32 v11, v11, v12
	v_fmac_f16_e32 v13, -0.5, v9
	v_sub_f16_e32 v9, v15, v16
	v_add_f16_e32 v10, v10, v12
	v_fmac_f16_e32 v8, -0.5, v14
	v_add_f16_e32 v12, v17, v16
	s_delay_alu instid0(VALU_DEP_4) | instskip(SKIP_1) | instid1(VALU_DEP_4)
	v_fmamk_f16 v14, v9, 0x3aee, v13
	v_fmac_f16_e32 v13, 0xbaee, v9
	v_fmamk_f16 v9, v11, 0xbaee, v8
	v_fmac_f16_e32 v8, 0x3aee, v11
	v_pack_b32_f16 v10, v12, v10
	s_delay_alu instid0(VALU_DEP_3) | instskip(NEXT) | instid1(VALU_DEP_3)
	v_pack_b32_f16 v9, v9, v14
	v_pack_b32_f16 v8, v8, v13
	ds_store_b32 v24, v10
	ds_store_b32 v24, v9 offset:1620
	ds_store_b32 v24, v8 offset:3240
	s_and_saveexec_b32 s0, vcc_lo
	s_cbranch_execz .LBB0_41
; %bb.40:
	v_mul_f16_e32 v8, v58, v6
	v_mul_f16_e32 v9, v57, v2
	;; [unrolled: 1-line block ×4, first 2 shown]
	s_delay_alu instid0(VALU_DEP_4) | instskip(NEXT) | instid1(VALU_DEP_4)
	v_fma_f16 v7, v18, v7, -v8
	v_fma_f16 v3, v19, v3, -v9
	s_delay_alu instid0(VALU_DEP_4) | instskip(NEXT) | instid1(VALU_DEP_4)
	v_fmac_f16_e32 v10, v18, v6
	v_fmac_f16_e32 v11, v19, v2
	s_delay_alu instid0(VALU_DEP_4) | instskip(NEXT) | instid1(VALU_DEP_4)
	v_add_f16_e32 v9, v5, v7
	v_add_f16_e32 v2, v7, v3
	s_delay_alu instid0(VALU_DEP_3) | instskip(SKIP_2) | instid1(VALU_DEP_4)
	v_add_f16_e32 v8, v10, v11
	v_sub_f16_e32 v6, v10, v11
	v_add_f16_e32 v10, v4, v10
	v_fma_f16 v2, -0.5, v2, v5
	v_sub_f16_e32 v5, v7, v3
	v_fma_f16 v4, -0.5, v8, v4
	v_add_f16_e32 v3, v9, v3
	v_add_f16_e32 v7, v10, v11
	v_fmamk_f16 v8, v6, 0xbaee, v2
	v_fmac_f16_e32 v2, 0x3aee, v6
	v_fmamk_f16 v6, v5, 0x3aee, v4
	v_fmac_f16_e32 v4, 0xbaee, v5
	v_pack_b32_f16 v3, v7, v3
	s_delay_alu instid0(VALU_DEP_2) | instskip(NEXT) | instid1(VALU_DEP_4)
	v_pack_b32_f16 v2, v4, v2
	v_pack_b32_f16 v4, v6, v8
	ds_store_b32 v24, v3 offset:972
	ds_store_b32 v24, v2 offset:2592
	;; [unrolled: 1-line block ×3, first 2 shown]
.LBB0_41:
	s_wait_alu 0xfffe
	s_or_b32 exec_lo, exec_lo, s0
	global_wb scope:SCOPE_SE
	s_wait_dscnt 0x0
	s_barrier_signal -1
	s_barrier_wait -1
	global_inv scope:SCOPE_SE
	ds_load_2addr_b32 v[2:3], v24 offset1:243
	v_mad_co_u64_u32 v[16:17], null, s4, v28, 0
	v_add_nc_u32_e32 v4, 0x780, v24
	s_mov_b32 s8, 0x40e53dbc
	s_mov_b32 s9, 0x3f4af834
	ds_load_2addr_b32 v[4:5], v4 offset0:6 offset1:249
	s_wait_dscnt 0x1
	v_lshrrev_b32_e32 v6, 16, v2
	v_mul_f16_e32 v7, v34, v2
	v_lshrrev_b32_e32 v8, 16, v3
	v_mul_f16_e32 v9, v33, v3
	s_delay_alu instid0(VALU_DEP_4) | instskip(NEXT) | instid1(VALU_DEP_4)
	v_mul_f16_e32 v10, v34, v6
	v_fma_f16 v7, v30, v6, -v7
	s_delay_alu instid0(VALU_DEP_4)
	v_mul_f16_e32 v11, v33, v8
	s_wait_dscnt 0x0
	v_lshrrev_b32_e32 v12, 16, v4
	v_fma_f16 v6, v31, v8, -v9
	v_fmac_f16_e32 v10, v30, v2
	v_cvt_f32_f16_e32 v7, v7
	v_fmac_f16_e32 v11, v31, v3
	v_mul_f16_e32 v13, v32, v12
	v_cvt_f32_f16_e32 v2, v6
	v_cvt_f32_f16_e32 v10, v10
	v_cvt_f64_f32_e32 v[6:7], v7
	s_delay_alu instid0(VALU_DEP_4) | instskip(NEXT) | instid1(VALU_DEP_4)
	v_fmac_f16_e32 v13, v29, v4
	v_cvt_f64_f32_e32 v[8:9], v2
	s_delay_alu instid0(VALU_DEP_4) | instskip(SKIP_3) | instid1(VALU_DEP_3)
	v_cvt_f64_f32_e32 v[2:3], v10
	v_cvt_f32_f16_e32 v10, v11
	v_mul_f16_e32 v4, v32, v4
	v_cvt_f32_f16_e32 v14, v13
	v_cvt_f64_f32_e32 v[10:11], v10
	s_delay_alu instid0(VALU_DEP_3) | instskip(NEXT) | instid1(VALU_DEP_3)
	v_fma_f16 v4, v29, v12, -v4
	v_cvt_f64_f32_e32 v[14:15], v14
	v_mad_co_u64_u32 v[12:13], null, s6, v1, 0
	s_delay_alu instid0(VALU_DEP_3) | instskip(NEXT) | instid1(VALU_DEP_1)
	v_cvt_f32_f16_e32 v4, v4
	v_cvt_f64_f32_e32 v[18:19], v4
	s_delay_alu instid0(VALU_DEP_3) | instskip(NEXT) | instid1(VALU_DEP_1)
	v_dual_mov_b32 v4, v13 :: v_dual_mov_b32 v13, v17
	v_mad_co_u64_u32 v[20:21], null, s7, v1, v[4:5]
	v_lshrrev_b32_e32 v4, 16, v5
	s_delay_alu instid0(VALU_DEP_1) | instskip(SKIP_2) | instid1(VALU_DEP_2)
	v_mul_f16_e32 v1, v27, v4
	s_wait_alu 0xfffe
	v_mul_f64_e32 v[6:7], s[8:9], v[6:7]
	v_fmac_f16_e32 v1, v26, v5
	v_mul_f16_e32 v5, v27, v5
	v_mul_f64_e32 v[8:9], s[8:9], v[8:9]
	v_mul_f64_e32 v[2:3], s[8:9], v[2:3]
	s_delay_alu instid0(VALU_DEP_4) | instskip(NEXT) | instid1(VALU_DEP_4)
	v_cvt_f32_f16_e32 v1, v1
	v_fma_f16 v4, v26, v4, -v5
	v_mul_f64_e32 v[10:11], s[8:9], v[10:11]
	v_mad_co_u64_u32 v[21:22], null, s5, v28, v[13:14]
	v_mov_b32_e32 v13, v20
	s_delay_alu instid0(VALU_DEP_4) | instskip(NEXT) | instid1(VALU_DEP_2)
	v_cvt_f32_f16_e32 v4, v4
	v_lshlrev_b64_e32 v[12:13], 2, v[12:13]
	s_delay_alu instid0(VALU_DEP_4) | instskip(SKIP_1) | instid1(VALU_DEP_3)
	v_mov_b32_e32 v17, v21
	v_mul_f64_e32 v[18:19], s[8:9], v[18:19]
	v_add_co_u32 v20, vcc_lo, s2, v12
	s_wait_alu 0xfffd
	s_delay_alu instid0(VALU_DEP_4) | instskip(SKIP_2) | instid1(VALU_DEP_1)
	v_add_co_ci_u32_e32 v21, vcc_lo, s3, v13, vcc_lo
	v_mul_f64_e32 v[12:13], s[8:9], v[14:15]
	v_lshlrev_b64_e32 v[16:17], 2, v[16:17]
	v_add_co_u32 v14, vcc_lo, v20, v16
	s_wait_alu 0xfffd
	s_delay_alu instid0(VALU_DEP_2)
	v_add_co_ci_u32_e32 v15, vcc_lo, v21, v17, vcc_lo
	v_cvt_f64_f32_e32 v[16:17], v1
	v_and_or_b32 v1, 0x1ff, v7, v6
	v_and_or_b32 v8, 0x1ff, v9, v8
	;; [unrolled: 1-line block ×3, first 2 shown]
	v_lshrrev_b32_e32 v6, 8, v7
	v_bfe_u32 v20, v7, 20, 11
	v_cmp_ne_u32_e32 vcc_lo, 0, v1
	v_bfe_u32 v28, v3, 20, 11
	v_and_or_b32 v10, 0x1ff, v11, v10
	v_bfe_u32 v22, v9, 20, 11
	v_lshrrev_b32_e32 v23, 8, v3
	s_wait_alu 0xfffd
	v_cndmask_b32_e64 v1, 0, 1, vcc_lo
	v_cmp_ne_u32_e32 vcc_lo, 0, v8
	v_sub_nc_u32_e32 v29, 0x3f1, v20
	v_add_nc_u32_e32 v20, 0xfffffc10, v20
	v_sub_nc_u32_e32 v33, 0x3f1, v28
	v_and_or_b32 v1, 0xffe, v6, v1
	s_wait_alu 0xfffd
	v_cndmask_b32_e64 v8, 0, 1, vcc_lo
	v_cmp_ne_u32_e32 vcc_lo, 0, v2
	v_lshrrev_b32_e32 v21, 8, v9
	v_lshrrev_b32_e32 v30, 8, v11
	v_sub_nc_u32_e32 v32, 0x3f1, v22
	v_med3_i32 v6, v29, 0, 13
	s_wait_alu 0xfffd
	v_cndmask_b32_e64 v2, 0, 1, vcc_lo
	v_cmp_ne_u32_e32 vcc_lo, 0, v10
	v_lshl_or_b32 v35, v20, 12, v1
	v_bfe_u32 v31, v11, 20, 11
	v_and_or_b32 v12, 0x1ff, v13, v12
	v_and_or_b32 v2, 0xffe, v23, v2
	s_wait_alu 0xfffd
	v_cndmask_b32_e64 v10, 0, 1, vcc_lo
	v_cmp_ne_u32_e32 vcc_lo, 0, v1
	v_med3_i32 v23, v33, 0, 13
	v_or_b32_e32 v33, 0x1000, v1
	v_add_nc_u32_e32 v28, 0xfffffc10, v28
	v_and_or_b32 v8, 0xffe, v21, v8
	s_wait_alu 0xfffd
	v_cndmask_b32_e64 v1, 0, 1, vcc_lo
	v_cmp_ne_u32_e32 vcc_lo, 0, v12
	v_med3_i32 v21, v32, 0, 13
	v_lshrrev_b32_e32 v32, 8, v13
	v_and_or_b32 v10, 0xffe, v30, v10
	v_or_b32_e32 v38, 0x1000, v2
	s_wait_alu 0xfffd
	v_cndmask_b32_e64 v12, 0, 1, vcc_lo
	v_cmp_ne_u32_e32 vcc_lo, 0, v2
	v_lshrrev_b32_e32 v40, v6, v33
	v_sub_nc_u32_e32 v29, 0x3f1, v31
	v_add_nc_u32_e32 v31, 0xfffffc10, v31
	v_or_b32_e32 v30, 0x1000, v8
	v_lshl_or_b32 v39, v28, 12, v2
	s_wait_alu 0xfffd
	v_cndmask_b32_e64 v2, 0, 1, vcc_lo
	v_cmp_ne_u32_e32 vcc_lo, 0, v10
	v_and_or_b32 v12, 0xffe, v32, v12
	v_lshrrev_b32_e32 v32, v23, v38
	v_lshlrev_b32_e32 v6, v6, v40
	v_med3_i32 v29, v29, 0, 13
	v_or_b32_e32 v41, 0x1000, v10
	v_lshl_or_b32 v42, v31, 12, v10
	s_wait_alu 0xfffd
	v_cndmask_b32_e64 v10, 0, 1, vcc_lo
	v_lshrrev_b32_e32 v43, v21, v30
	v_lshlrev_b32_e32 v23, v23, v32
	v_cmp_ne_u32_e32 vcc_lo, v6, v33
	v_lshrrev_b32_e32 v44, v29, v41
	v_lshl_or_b32 v2, v2, 9, 0x7c00
	v_lshlrev_b32_e32 v21, v21, v43
	v_lshrrev_b32_e32 v3, 16, v3
	s_wait_alu 0xfffd
	v_cndmask_b32_e64 v6, 0, 1, vcc_lo
	v_cmp_ne_u32_e32 vcc_lo, v23, v38
	v_lshlrev_b32_e32 v29, v29, v44
	v_lshl_or_b32 v1, v1, 9, 0x7c00
	v_lshrrev_b32_e32 v7, 16, v7
	v_or_b32_e32 v6, v40, v6
	s_wait_alu 0xfffd
	v_cndmask_b32_e64 v23, 0, 1, vcc_lo
	v_cmp_ne_u32_e32 vcc_lo, v21, v30
	v_bfe_u32 v34, v13, 20, 11
	v_lshl_or_b32 v10, v10, 9, 0x7c00
	s_delay_alu instid0(VALU_DEP_4) | instskip(SKIP_4) | instid1(VALU_DEP_3)
	v_or_b32_e32 v23, v32, v23
	s_wait_alu 0xfffd
	v_cndmask_b32_e64 v21, 0, 1, vcc_lo
	v_cmp_ne_u32_e32 vcc_lo, v29, v41
	v_sub_nc_u32_e32 v37, 0x3f1, v34
	v_or_b32_e32 v21, v43, v21
	s_wait_alu 0xfffd
	v_cndmask_b32_e64 v29, 0, 1, vcc_lo
	v_cmp_gt_i32_e32 vcc_lo, 1, v20
	s_delay_alu instid0(VALU_DEP_2)
	v_or_b32_e32 v29, v44, v29
	s_wait_alu 0xfffd
	v_cndmask_b32_e32 v6, v35, v6, vcc_lo
	v_cmp_gt_i32_e32 vcc_lo, 1, v28
	s_wait_alu 0xfffd
	v_dual_cndmask_b32 v23, v39, v23 :: v_dual_add_nc_u32 v22, 0xfffffc10, v22
	s_delay_alu instid0(VALU_DEP_1) | instskip(SKIP_1) | instid1(VALU_DEP_3)
	v_lshl_or_b32 v36, v22, 12, v8
	v_cmp_gt_i32_e32 vcc_lo, 1, v22
	v_and_b32_e32 v32, 7, v23
	v_lshrrev_b32_e32 v23, 2, v23
	s_wait_alu 0xfffd
	v_cndmask_b32_e32 v21, v36, v21, vcc_lo
	v_cmp_gt_i32_e32 vcc_lo, 1, v31
	v_and_b32_e32 v30, 7, v6
	v_cmp_eq_u32_e64 s0, 3, v32
	v_lshrrev_b32_e32 v6, 2, v6
	v_and_b32_e32 v33, 7, v21
	s_wait_alu 0xfffd
	v_cndmask_b32_e32 v29, v42, v29, vcc_lo
	v_cmp_lt_i32_e32 vcc_lo, 5, v32
	v_cmp_lt_i32_e64 s1, 5, v30
	v_cmp_eq_u32_e64 s2, 3, v30
	s_delay_alu instid0(VALU_DEP_4)
	v_and_b32_e32 v30, 7, v29
	s_or_b32 vcc_lo, s0, vcc_lo
	v_cmp_gt_i32_e64 s0, 31, v20
	s_wait_alu 0xfffe
	v_add_co_ci_u32_e32 v23, vcc_lo, 0, v23, vcc_lo
	s_or_b32 vcc_lo, s2, s1
	v_cmp_eq_u32_e64 s1, 0x40f, v20
	s_wait_alu 0xfffe
	v_add_co_ci_u32_e32 v6, vcc_lo, 0, v6, vcc_lo
	v_cmp_gt_i32_e32 vcc_lo, 31, v28
	s_mul_u64 s[2:3], s[4:5], 0x3cc
	s_delay_alu instid0(VALU_DEP_2)
	v_cndmask_b32_e64 v6, 0x7c00, v6, s0
	v_cmp_eq_u32_e64 s0, 0x40f, v28
	s_wait_alu 0xfffd
	v_cndmask_b32_e32 v23, 0x7c00, v23, vcc_lo
	v_cmp_lt_i32_e32 vcc_lo, 5, v30
	v_cndmask_b32_e64 v1, v6, v1, s1
	v_or_b32_e32 v6, 0x1000, v12
	s_wait_alu 0xf1ff
	v_cndmask_b32_e64 v2, v23, v2, s0
	v_cmp_eq_u32_e64 s0, 3, v30
	v_lshrrev_b32_e32 v23, 2, v29
	v_and_or_b32 v1, 0x8000, v7, v1
	v_cmp_eq_u32_e64 s1, 0x40f, v31
	v_and_or_b32 v2, 0x8000, v3, v2
	s_or_b32 vcc_lo, s0, vcc_lo
	v_cmp_gt_i32_e64 s0, 31, v31
	s_wait_alu 0xfffe
	v_add_co_ci_u32_e32 v3, vcc_lo, 0, v23, vcc_lo
	v_and_b32_e32 v2, 0xffff, v2
	v_cmp_lt_i32_e32 vcc_lo, 5, v33
	s_wait_alu 0xf1ff
	s_delay_alu instid0(VALU_DEP_3)
	v_cndmask_b32_e64 v3, 0x7c00, v3, s0
	v_cmp_eq_u32_e64 s0, 3, v33
	v_lshl_or_b32 v20, v1, 16, v2
	v_lshrrev_b32_e32 v2, 2, v21
	v_med3_i32 v1, v37, 0, 13
	v_cndmask_b32_e64 v3, v3, v10, s1
	s_or_b32 vcc_lo, s0, vcc_lo
	v_lshrrev_b32_e32 v10, 16, v11
	s_wait_alu 0xfffe
	v_add_co_ci_u32_e32 v2, vcc_lo, 0, v2, vcc_lo
	v_lshrrev_b32_e32 v7, v1, v6
	v_cmp_ne_u32_e32 vcc_lo, 0, v8
	v_and_or_b32 v3, 0x8000, v10, v3
	ds_load_b32 v10, v24 offset:3888
	v_lshlrev_b32_e32 v1, v1, v7
	s_wait_alu 0xfffd
	v_cndmask_b32_e64 v8, 0, 1, vcc_lo
	v_cmp_gt_i32_e32 vcc_lo, 31, v22
	s_delay_alu instid0(VALU_DEP_2)
	v_lshl_or_b32 v8, v8, 9, 0x7c00
	s_wait_alu 0xfffd
	v_cndmask_b32_e32 v2, 0x7c00, v2, vcc_lo
	v_cmp_ne_u32_e32 vcc_lo, v1, v6
	s_wait_alu 0xfffd
	v_cndmask_b32_e64 v1, 0, 1, vcc_lo
	v_cmp_eq_u32_e32 vcc_lo, 0x40f, v22
	s_delay_alu instid0(VALU_DEP_2)
	v_or_b32_e32 v7, v7, v1
	s_wait_alu 0xfffd
	v_cndmask_b32_e32 v6, v2, v8, vcc_lo
	v_lshrrev_b32_e32 v8, 16, v9
	v_add_nc_u32_e32 v9, 0xfffffc10, v34
	v_mul_f64_e32 v[1:2], s[8:9], v[16:17]
	v_and_or_b32 v16, 0x1ff, v19, v18
	s_delay_alu instid0(VALU_DEP_4) | instskip(NEXT) | instid1(VALU_DEP_4)
	v_and_or_b32 v6, 0x8000, v8, v6
	v_lshl_or_b32 v11, v9, 12, v12
	v_cmp_gt_i32_e32 vcc_lo, 1, v9
	v_lshrrev_b32_e32 v8, 8, v19
	s_wait_alu 0xfffd
	s_delay_alu instid0(VALU_DEP_3)
	v_cndmask_b32_e32 v5, v11, v7, vcc_lo
	v_cmp_ne_u32_e32 vcc_lo, 0, v16
	v_bfe_u32 v11, v19, 20, 11
	v_and_b32_e32 v16, 0xffff, v3
	v_cvt_f64_f32_e32 v[3:4], v4
	v_and_b32_e32 v17, 7, v5
	s_wait_alu 0xfffd
	v_cndmask_b32_e64 v7, 0, 1, vcc_lo
	v_lshrrev_b32_e32 v5, 2, v5
	v_lshl_or_b32 v16, v6, 16, v16
	v_cmp_lt_i32_e32 vcc_lo, 5, v17
	s_delay_alu instid0(VALU_DEP_4)
	v_and_or_b32 v18, 0xffe, v8, v7
	v_sub_nc_u32_e32 v7, 0x3f1, v11
	s_wait_dscnt 0x0
	v_lshrrev_b32_e32 v8, 16, v10
	v_cmp_eq_u32_e64 s0, 3, v17
	v_add_nc_u32_e32 v11, 0xfffffc10, v11
	v_or_b32_e32 v21, 0x1000, v18
	v_med3_i32 v6, v7, 0, 13
	v_mul_f16_e32 v7, v25, v8
	s_or_b32 vcc_lo, s0, vcc_lo
	s_wait_alu 0xfffe
	v_add_co_ci_u32_e32 v5, vcc_lo, 0, v5, vcc_lo
	v_lshrrev_b32_e32 v17, v6, v21
	v_cmp_ne_u32_e32 vcc_lo, 0, v12
	v_fmac_f16_e32 v7, v0, v10
	v_mul_f16_e32 v10, v25, v10
	s_delay_alu instid0(VALU_DEP_4)
	v_lshlrev_b32_e32 v22, v6, v17
	s_wait_alu 0xfffd
	v_cndmask_b32_e64 v12, 0, 1, vcc_lo
	v_cmp_gt_i32_e32 vcc_lo, 31, v9
	v_cvt_f32_f16_e32 v6, v7
	v_and_or_b32 v1, 0x1ff, v2, v1
	v_fma_f16 v8, v0, v8, -v10
	v_lshl_or_b32 v10, v11, 12, v18
	s_wait_alu 0xfffd
	v_cndmask_b32_e32 v7, 0x7c00, v5, vcc_lo
	v_cmp_ne_u32_e32 vcc_lo, v22, v21
	v_cvt_f64_f32_e32 v[5:6], v6
	v_lshrrev_b32_e32 v22, 8, v2
	v_lshl_or_b32 v12, v12, 9, 0x7c00
	s_wait_alu 0xfffd
	v_cndmask_b32_e64 v21, 0, 1, vcc_lo
	v_cmp_ne_u32_e32 vcc_lo, 0, v1
	s_delay_alu instid0(VALU_DEP_2)
	v_or_b32_e32 v17, v17, v21
	s_wait_alu 0xfffd
	v_cndmask_b32_e64 v1, 0, 1, vcc_lo
	v_bfe_u32 v21, v2, 20, 11
	v_cmp_gt_i32_e32 vcc_lo, 1, v11
	v_lshrrev_b32_e32 v2, 16, v2
	s_delay_alu instid0(VALU_DEP_4)
	v_and_or_b32 v22, 0xffe, v22, v1
	v_mul_f64_e32 v[0:1], s[8:9], v[3:4]
	v_sub_nc_u32_e32 v3, 0x3f1, v21
	s_wait_alu 0xfffd
	v_cndmask_b32_e32 v10, v10, v17, vcc_lo
	v_cmp_eq_u32_e32 vcc_lo, 0x40f, v9
	v_cvt_f32_f16_e32 v4, v8
	v_or_b32_e32 v17, 0x1000, v22
	v_med3_i32 v23, v3, 0, 13
	s_wait_alu 0xfffd
	v_cndmask_b32_e32 v9, v7, v12, vcc_lo
	v_lshrrev_b32_e32 v12, 16, v13
	v_and_b32_e32 v13, 7, v10
	v_cvt_f64_f32_e32 v[3:4], v4
	v_add_co_u32 v7, vcc_lo, v14, s2
	v_lshrrev_b32_e32 v24, v23, v17
	s_wait_alu 0xfffd
	v_add_co_ci_u32_e32 v8, vcc_lo, s3, v15, vcc_lo
	v_cmp_lt_i32_e32 vcc_lo, 5, v13
	v_cmp_eq_u32_e64 s0, 3, v13
	v_lshrrev_b32_e32 v10, 2, v10
	v_lshlrev_b32_e32 v23, v23, v24
	v_and_or_b32 v9, 0x8000, v12, v9
	v_mul_f64_e32 v[5:6], s[8:9], v[5:6]
	s_or_b32 vcc_lo, s0, vcc_lo
	v_add_nc_u32_e32 v13, 0xfffffc10, v21
	s_wait_alu 0xfffe
	v_add_co_ci_u32_e32 v10, vcc_lo, 0, v10, vcc_lo
	v_cmp_ne_u32_e64 s1, v23, v17
	v_cmp_ne_u32_e32 vcc_lo, 0, v18
	v_lshl_or_b32 v18, v13, 12, v22
	v_and_b32_e32 v9, 0xffff, v9
	s_wait_alu 0xf1ff
	v_cndmask_b32_e64 v12, 0, 1, s1
	s_wait_alu 0xfffd
	v_cndmask_b32_e64 v17, 0, 1, vcc_lo
	v_cmp_gt_i32_e32 vcc_lo, 31, v11
	s_delay_alu instid0(VALU_DEP_3) | instskip(NEXT) | instid1(VALU_DEP_3)
	v_or_b32_e32 v12, v24, v12
	v_lshl_or_b32 v17, v17, 9, 0x7c00
	s_wait_alu 0xfffd
	v_cndmask_b32_e32 v10, 0x7c00, v10, vcc_lo
	v_cmp_gt_i32_e32 vcc_lo, 1, v13
	v_and_or_b32 v0, 0x1ff, v1, v0
	s_wait_alu 0xfffd
	v_cndmask_b32_e32 v12, v18, v12, vcc_lo
	v_cmp_eq_u32_e32 vcc_lo, 0x40f, v11
	v_lshrrev_b32_e32 v11, 16, v19
	v_lshrrev_b32_e32 v18, 8, v1
	v_mul_f64_e32 v[3:4], s[8:9], v[3:4]
	v_bfe_u32 v19, v1, 20, 11
	s_wait_alu 0xfffd
	v_cndmask_b32_e32 v10, v10, v17, vcc_lo
	v_cmp_ne_u32_e32 vcc_lo, 0, v0
	v_and_b32_e32 v17, 7, v12
	v_lshrrev_b32_e32 v1, 16, v1
	s_delay_alu instid0(VALU_DEP_4)
	v_and_or_b32 v10, 0x8000, v11, v10
	s_wait_alu 0xfffd
	v_cndmask_b32_e64 v0, 0, 1, vcc_lo
	v_cmp_lt_i32_e32 vcc_lo, 5, v17
	v_cmp_eq_u32_e64 s0, 3, v17
	v_sub_nc_u32_e32 v11, 0x3f1, v19
	v_lshl_or_b32 v9, v10, 16, v9
	v_lshrrev_b32_e32 v10, 2, v12
	v_and_or_b32 v0, 0xffe, v18, v0
	s_or_b32 vcc_lo, s0, vcc_lo
	v_med3_i32 v11, v11, 0, 13
	v_and_or_b32 v5, 0x1ff, v6, v5
	s_wait_alu 0xfffe
	v_add_co_ci_u32_e32 v10, vcc_lo, 0, v10, vcc_lo
	v_or_b32_e32 v12, 0x1000, v0
	v_cmp_ne_u32_e32 vcc_lo, 0, v22
	v_lshrrev_b32_e32 v21, 8, v6
	v_bfe_u32 v22, v6, 20, 11
	v_lshrrev_b32_e32 v6, 16, v6
	v_lshrrev_b32_e32 v18, v11, v12
	s_wait_alu 0xfffd
	v_cndmask_b32_e64 v17, 0, 1, vcc_lo
	v_cmp_gt_i32_e32 vcc_lo, 31, v13
	s_delay_alu instid0(VALU_DEP_3) | instskip(NEXT) | instid1(VALU_DEP_3)
	v_lshlrev_b32_e32 v11, v11, v18
	v_lshl_or_b32 v17, v17, 9, 0x7c00
	s_wait_alu 0xfffd
	v_cndmask_b32_e32 v10, 0x7c00, v10, vcc_lo
	v_cmp_ne_u32_e32 vcc_lo, 0, v5
	s_wait_alu 0xfffd
	v_cndmask_b32_e64 v5, 0, 1, vcc_lo
	v_cmp_ne_u32_e32 vcc_lo, v11, v12
	v_add_nc_u32_e32 v12, 0xfffffc10, v19
	v_sub_nc_u32_e32 v19, 0x3f1, v22
	v_and_or_b32 v3, 0x1ff, v4, v3
	v_and_or_b32 v5, 0xffe, v21, v5
	s_wait_alu 0xfffd
	v_cndmask_b32_e64 v11, 0, 1, vcc_lo
	v_cmp_eq_u32_e32 vcc_lo, 0x40f, v13
	v_lshl_or_b32 v13, v12, 12, v0
	v_bfe_u32 v21, v4, 20, 11
	s_delay_alu instid0(VALU_DEP_4)
	v_or_b32_e32 v11, v18, v11
	s_wait_alu 0xfffd
	v_cndmask_b32_e32 v10, v10, v17, vcc_lo
	v_or_b32_e32 v17, 0x1000, v5
	v_med3_i32 v18, v19, 0, 13
	v_cmp_gt_i32_e32 vcc_lo, 1, v12
	v_lshrrev_b32_e32 v19, 8, v4
	v_and_or_b32 v2, 0x8000, v2, v10
	v_sub_nc_u32_e32 v10, 0x3f1, v21
	v_lshrrev_b32_e32 v4, 16, v4
	s_wait_alu 0xfffd
	v_cndmask_b32_e32 v11, v13, v11, vcc_lo
	v_lshrrev_b32_e32 v13, v18, v17
	v_cmp_ne_u32_e32 vcc_lo, 0, v3
	v_med3_i32 v10, v10, 0, 13
	v_and_b32_e32 v2, 0xffff, v2
	v_and_b32_e32 v23, 7, v11
	v_lshlrev_b32_e32 v18, v18, v13
	s_wait_alu 0xfffd
	v_cndmask_b32_e64 v3, 0, 1, vcc_lo
	v_lshrrev_b32_e32 v11, 2, v11
	v_cmp_lt_i32_e32 vcc_lo, 5, v23
	v_cmp_ne_u32_e64 s0, v18, v17
	s_delay_alu instid0(VALU_DEP_4) | instskip(SKIP_2) | instid1(VALU_DEP_3)
	v_and_or_b32 v3, 0xffe, v19, v3
	v_add_nc_u32_e32 v19, 0xfffffc10, v22
	s_wait_alu 0xf1ff
	v_cndmask_b32_e64 v17, 0, 1, s0
	v_cmp_eq_u32_e64 s0, 3, v23
	v_or_b32_e32 v18, 0x1000, v3
	v_lshl_or_b32 v22, v19, 12, v5
	s_delay_alu instid0(VALU_DEP_4) | instskip(NEXT) | instid1(VALU_DEP_4)
	v_or_b32_e32 v13, v13, v17
	s_or_b32 vcc_lo, s0, vcc_lo
	s_delay_alu instid0(VALU_DEP_3) | instskip(SKIP_3) | instid1(VALU_DEP_3)
	v_lshrrev_b32_e32 v17, v10, v18
	s_wait_alu 0xfffe
	v_add_co_ci_u32_e32 v11, vcc_lo, 0, v11, vcc_lo
	v_cmp_gt_i32_e32 vcc_lo, 1, v19
	v_lshlrev_b32_e32 v10, v10, v17
	s_wait_alu 0xfffd
	v_cndmask_b32_e32 v13, v22, v13, vcc_lo
	v_cmp_ne_u32_e32 vcc_lo, 0, v0
	s_wait_alu 0xfffd
	v_cndmask_b32_e64 v0, 0, 1, vcc_lo
	v_cmp_ne_u32_e32 vcc_lo, v10, v18
	v_add_nc_u32_e32 v18, 0xfffffc10, v21
	v_and_b32_e32 v21, 7, v13
	s_delay_alu instid0(VALU_DEP_4)
	v_lshl_or_b32 v0, v0, 9, 0x7c00
	s_wait_alu 0xfffd
	v_cndmask_b32_e64 v10, 0, 1, vcc_lo
	v_cmp_gt_i32_e32 vcc_lo, 31, v12
	v_cmp_gt_i32_e64 s1, 1, v18
	v_cmp_eq_u32_e64 s0, 3, v21
	s_delay_alu instid0(VALU_DEP_4)
	v_or_b32_e32 v10, v17, v10
	v_lshl_or_b32 v17, v18, 12, v3
	s_wait_alu 0xfffd
	v_cndmask_b32_e32 v11, 0x7c00, v11, vcc_lo
	v_cmp_lt_i32_e32 vcc_lo, 5, v21
	s_wait_alu 0xf1ff
	v_cndmask_b32_e64 v10, v17, v10, s1
	v_cmp_eq_u32_e64 s1, 0x40f, v12
	s_or_b32 vcc_lo, s0, vcc_lo
	s_delay_alu instid0(VALU_DEP_2) | instskip(NEXT) | instid1(VALU_DEP_2)
	v_and_b32_e32 v12, 7, v10
	v_cndmask_b32_e64 v0, v11, v0, s1
	v_lshrrev_b32_e32 v11, 2, v13
	v_lshrrev_b32_e32 v10, 2, v10
	v_cmp_gt_i32_e64 s1, 31, v19
	v_cmp_eq_u32_e64 s0, 3, v12
	s_wait_alu 0xfffe
	v_add_co_ci_u32_e32 v11, vcc_lo, 0, v11, vcc_lo
	v_cmp_ne_u32_e32 vcc_lo, 0, v5
	s_wait_alu 0xf1ff
	s_delay_alu instid0(VALU_DEP_2) | instskip(SKIP_3) | instid1(VALU_DEP_2)
	v_cndmask_b32_e64 v11, 0x7c00, v11, s1
	s_wait_alu 0xfffd
	v_cndmask_b32_e64 v5, 0, 1, vcc_lo
	v_cmp_lt_i32_e32 vcc_lo, 5, v12
	v_lshl_or_b32 v5, v5, 9, 0x7c00
	s_or_b32 vcc_lo, s0, vcc_lo
	s_wait_alu 0xfffe
	v_add_co_ci_u32_e32 v10, vcc_lo, 0, v10, vcc_lo
	v_cmp_ne_u32_e32 vcc_lo, 0, v3
	s_wait_alu 0xfffd
	v_cndmask_b32_e64 v3, 0, 1, vcc_lo
	v_cmp_eq_u32_e32 vcc_lo, 0x40f, v19
	s_delay_alu instid0(VALU_DEP_2) | instskip(SKIP_4) | instid1(VALU_DEP_3)
	v_lshl_or_b32 v3, v3, 9, 0x7c00
	s_wait_alu 0xfffd
	v_cndmask_b32_e32 v5, v11, v5, vcc_lo
	v_cmp_gt_i32_e32 vcc_lo, 31, v18
	v_and_or_b32 v11, 0x8000, v1, v0
	v_and_or_b32 v5, 0x8000, v6, v5
	s_wait_alu 0xfffd
	v_cndmask_b32_e32 v10, 0x7c00, v10, vcc_lo
	v_cmp_eq_u32_e32 vcc_lo, 0x40f, v18
	v_lshl_or_b32 v6, v11, 16, v2
	v_and_b32_e32 v5, 0xffff, v5
	s_wait_alu 0xfffd
	v_cndmask_b32_e32 v3, v10, v3, vcc_lo
	v_add_co_u32 v0, vcc_lo, v7, s2
	s_wait_alu 0xfffd
	v_add_co_ci_u32_e32 v1, vcc_lo, s3, v8, vcc_lo
	s_delay_alu instid0(VALU_DEP_3) | instskip(NEXT) | instid1(VALU_DEP_3)
	v_and_or_b32 v4, 0x8000, v4, v3
	v_add_co_u32 v2, vcc_lo, v0, s2
	s_wait_alu 0xfffd
	s_delay_alu instid0(VALU_DEP_3) | instskip(NEXT) | instid1(VALU_DEP_3)
	v_add_co_ci_u32_e32 v3, vcc_lo, s3, v1, vcc_lo
	v_lshl_or_b32 v10, v4, 16, v5
	s_delay_alu instid0(VALU_DEP_3) | instskip(SKIP_1) | instid1(VALU_DEP_3)
	v_add_co_u32 v4, vcc_lo, v2, s2
	s_wait_alu 0xfffd
	v_add_co_ci_u32_e32 v5, vcc_lo, s3, v3, vcc_lo
	s_clause 0x4
	global_store_b32 v[14:15], v20, off
	global_store_b32 v[7:8], v16, off
	;; [unrolled: 1-line block ×5, first 2 shown]
.LBB0_42:
	s_nop 0
	s_sendmsg sendmsg(MSG_DEALLOC_VGPRS)
	s_endpgm
	.section	.rodata,"a",@progbits
	.p2align	6, 0x0
	.amdhsa_kernel bluestein_single_back_len1215_dim1_half_op_CI_CI
		.amdhsa_group_segment_fixed_size 4860
		.amdhsa_private_segment_fixed_size 0
		.amdhsa_kernarg_size 104
		.amdhsa_user_sgpr_count 2
		.amdhsa_user_sgpr_dispatch_ptr 0
		.amdhsa_user_sgpr_queue_ptr 0
		.amdhsa_user_sgpr_kernarg_segment_ptr 1
		.amdhsa_user_sgpr_dispatch_id 0
		.amdhsa_user_sgpr_private_segment_size 0
		.amdhsa_wavefront_size32 1
		.amdhsa_uses_dynamic_stack 0
		.amdhsa_enable_private_segment 0
		.amdhsa_system_sgpr_workgroup_id_x 1
		.amdhsa_system_sgpr_workgroup_id_y 0
		.amdhsa_system_sgpr_workgroup_id_z 0
		.amdhsa_system_sgpr_workgroup_info 0
		.amdhsa_system_vgpr_workitem_id 0
		.amdhsa_next_free_vgpr 82
		.amdhsa_next_free_sgpr 20
		.amdhsa_reserve_vcc 1
		.amdhsa_float_round_mode_32 0
		.amdhsa_float_round_mode_16_64 0
		.amdhsa_float_denorm_mode_32 3
		.amdhsa_float_denorm_mode_16_64 3
		.amdhsa_fp16_overflow 0
		.amdhsa_workgroup_processor_mode 1
		.amdhsa_memory_ordered 1
		.amdhsa_forward_progress 0
		.amdhsa_round_robin_scheduling 0
		.amdhsa_exception_fp_ieee_invalid_op 0
		.amdhsa_exception_fp_denorm_src 0
		.amdhsa_exception_fp_ieee_div_zero 0
		.amdhsa_exception_fp_ieee_overflow 0
		.amdhsa_exception_fp_ieee_underflow 0
		.amdhsa_exception_fp_ieee_inexact 0
		.amdhsa_exception_int_div_zero 0
	.end_amdhsa_kernel
	.text
.Lfunc_end0:
	.size	bluestein_single_back_len1215_dim1_half_op_CI_CI, .Lfunc_end0-bluestein_single_back_len1215_dim1_half_op_CI_CI
                                        ; -- End function
	.section	.AMDGPU.csdata,"",@progbits
; Kernel info:
; codeLenInByte = 11744
; NumSgprs: 22
; NumVgprs: 82
; ScratchSize: 0
; MemoryBound: 0
; FloatMode: 240
; IeeeMode: 1
; LDSByteSize: 4860 bytes/workgroup (compile time only)
; SGPRBlocks: 2
; VGPRBlocks: 10
; NumSGPRsForWavesPerEU: 22
; NumVGPRsForWavesPerEU: 82
; Occupancy: 16
; WaveLimiterHint : 1
; COMPUTE_PGM_RSRC2:SCRATCH_EN: 0
; COMPUTE_PGM_RSRC2:USER_SGPR: 2
; COMPUTE_PGM_RSRC2:TRAP_HANDLER: 0
; COMPUTE_PGM_RSRC2:TGID_X_EN: 1
; COMPUTE_PGM_RSRC2:TGID_Y_EN: 0
; COMPUTE_PGM_RSRC2:TGID_Z_EN: 0
; COMPUTE_PGM_RSRC2:TIDIG_COMP_CNT: 0
	.text
	.p2alignl 7, 3214868480
	.fill 96, 4, 3214868480
	.type	__hip_cuid_f3cf230472348,@object ; @__hip_cuid_f3cf230472348
	.section	.bss,"aw",@nobits
	.globl	__hip_cuid_f3cf230472348
__hip_cuid_f3cf230472348:
	.byte	0                               ; 0x0
	.size	__hip_cuid_f3cf230472348, 1

	.ident	"AMD clang version 19.0.0git (https://github.com/RadeonOpenCompute/llvm-project roc-6.4.0 25133 c7fe45cf4b819c5991fe208aaa96edf142730f1d)"
	.section	".note.GNU-stack","",@progbits
	.addrsig
	.addrsig_sym __hip_cuid_f3cf230472348
	.amdgpu_metadata
---
amdhsa.kernels:
  - .args:
      - .actual_access:  read_only
        .address_space:  global
        .offset:         0
        .size:           8
        .value_kind:     global_buffer
      - .actual_access:  read_only
        .address_space:  global
        .offset:         8
        .size:           8
        .value_kind:     global_buffer
      - .actual_access:  read_only
        .address_space:  global
        .offset:         16
        .size:           8
        .value_kind:     global_buffer
      - .actual_access:  read_only
        .address_space:  global
        .offset:         24
        .size:           8
        .value_kind:     global_buffer
      - .actual_access:  read_only
        .address_space:  global
        .offset:         32
        .size:           8
        .value_kind:     global_buffer
      - .offset:         40
        .size:           8
        .value_kind:     by_value
      - .address_space:  global
        .offset:         48
        .size:           8
        .value_kind:     global_buffer
      - .address_space:  global
        .offset:         56
        .size:           8
        .value_kind:     global_buffer
      - .address_space:  global
        .offset:         64
        .size:           8
        .value_kind:     global_buffer
      - .address_space:  global
        .offset:         72
        .size:           8
        .value_kind:     global_buffer
      - .offset:         80
        .size:           4
        .value_kind:     by_value
      - .address_space:  global
        .offset:         88
        .size:           8
        .value_kind:     global_buffer
      - .address_space:  global
        .offset:         96
        .size:           8
        .value_kind:     global_buffer
    .group_segment_fixed_size: 4860
    .kernarg_segment_align: 8
    .kernarg_segment_size: 104
    .language:       OpenCL C
    .language_version:
      - 2
      - 0
    .max_flat_workgroup_size: 243
    .name:           bluestein_single_back_len1215_dim1_half_op_CI_CI
    .private_segment_fixed_size: 0
    .sgpr_count:     22
    .sgpr_spill_count: 0
    .symbol:         bluestein_single_back_len1215_dim1_half_op_CI_CI.kd
    .uniform_work_group_size: 1
    .uses_dynamic_stack: false
    .vgpr_count:     82
    .vgpr_spill_count: 0
    .wavefront_size: 32
    .workgroup_processor_mode: 1
amdhsa.target:   amdgcn-amd-amdhsa--gfx1201
amdhsa.version:
  - 1
  - 2
...

	.end_amdgpu_metadata
